;; amdgpu-corpus repo=ROCm/rocFFT kind=compiled arch=gfx906 opt=O3
	.text
	.amdgcn_target "amdgcn-amd-amdhsa--gfx906"
	.amdhsa_code_object_version 6
	.protected	fft_rtc_back_len3456_factors_6_6_6_4_4_wgs_144_tpt_144_halfLds_half_op_CI_CI_unitstride_sbrr_C2R_dirReg ; -- Begin function fft_rtc_back_len3456_factors_6_6_6_4_4_wgs_144_tpt_144_halfLds_half_op_CI_CI_unitstride_sbrr_C2R_dirReg
	.globl	fft_rtc_back_len3456_factors_6_6_6_4_4_wgs_144_tpt_144_halfLds_half_op_CI_CI_unitstride_sbrr_C2R_dirReg
	.p2align	8
	.type	fft_rtc_back_len3456_factors_6_6_6_4_4_wgs_144_tpt_144_halfLds_half_op_CI_CI_unitstride_sbrr_C2R_dirReg,@function
fft_rtc_back_len3456_factors_6_6_6_4_4_wgs_144_tpt_144_halfLds_half_op_CI_CI_unitstride_sbrr_C2R_dirReg: ; @fft_rtc_back_len3456_factors_6_6_6_4_4_wgs_144_tpt_144_halfLds_half_op_CI_CI_unitstride_sbrr_C2R_dirReg
; %bb.0:
	s_load_dwordx4 s[8:11], s[4:5], 0x58
	s_load_dwordx4 s[12:15], s[4:5], 0x0
	;; [unrolled: 1-line block ×3, first 2 shown]
	v_mul_u32_u24_e32 v1, 0x1c8, v0
	v_mov_b32_e32 v3, 0
	v_mov_b32_e32 v7, 0
	s_waitcnt lgkmcnt(0)
	v_cmp_lt_u64_e64 s[0:1], s[14:15], 2
	v_add_u32_sdwa v9, s6, v1 dst_sel:DWORD dst_unused:UNUSED_PAD src0_sel:DWORD src1_sel:WORD_1
	v_mov_b32_e32 v10, v3
	s_and_b64 vcc, exec, s[0:1]
	v_mov_b32_e32 v8, 0
	s_cbranch_vccnz .LBB0_8
; %bb.1:
	s_load_dwordx2 s[0:1], s[4:5], 0x10
	s_add_u32 s2, s18, 8
	s_addc_u32 s3, s19, 0
	s_add_u32 s6, s16, 8
	s_addc_u32 s7, s17, 0
	v_mov_b32_e32 v7, 0
	s_waitcnt lgkmcnt(0)
	s_add_u32 s20, s0, 8
	v_mov_b32_e32 v8, 0
	v_mov_b32_e32 v1, v7
	s_addc_u32 s21, s1, 0
	s_mov_b64 s[22:23], 1
	v_mov_b32_e32 v2, v8
.LBB0_2:                                ; =>This Inner Loop Header: Depth=1
	s_load_dwordx2 s[24:25], s[20:21], 0x0
                                        ; implicit-def: $vgpr5_vgpr6
	s_waitcnt lgkmcnt(0)
	v_or_b32_e32 v4, s25, v10
	v_cmp_ne_u64_e32 vcc, 0, v[3:4]
	s_and_saveexec_b64 s[0:1], vcc
	s_xor_b64 s[26:27], exec, s[0:1]
	s_cbranch_execz .LBB0_4
; %bb.3:                                ;   in Loop: Header=BB0_2 Depth=1
	v_cvt_f32_u32_e32 v4, s24
	v_cvt_f32_u32_e32 v5, s25
	s_sub_u32 s0, 0, s24
	s_subb_u32 s1, 0, s25
	v_mac_f32_e32 v4, 0x4f800000, v5
	v_rcp_f32_e32 v4, v4
	v_mul_f32_e32 v4, 0x5f7ffffc, v4
	v_mul_f32_e32 v5, 0x2f800000, v4
	v_trunc_f32_e32 v5, v5
	v_mac_f32_e32 v4, 0xcf800000, v5
	v_cvt_u32_f32_e32 v5, v5
	v_cvt_u32_f32_e32 v4, v4
	v_mul_lo_u32 v6, s0, v5
	v_mul_hi_u32 v11, s0, v4
	v_mul_lo_u32 v13, s1, v4
	v_mul_lo_u32 v12, s0, v4
	v_add_u32_e32 v6, v11, v6
	v_add_u32_e32 v6, v6, v13
	v_mul_hi_u32 v11, v4, v12
	v_mul_lo_u32 v13, v4, v6
	v_mul_hi_u32 v15, v4, v6
	v_mul_hi_u32 v14, v5, v12
	v_mul_lo_u32 v12, v5, v12
	v_mul_hi_u32 v16, v5, v6
	v_add_co_u32_e32 v11, vcc, v11, v13
	v_addc_co_u32_e32 v13, vcc, 0, v15, vcc
	v_mul_lo_u32 v6, v5, v6
	v_add_co_u32_e32 v11, vcc, v11, v12
	v_addc_co_u32_e32 v11, vcc, v13, v14, vcc
	v_addc_co_u32_e32 v12, vcc, 0, v16, vcc
	v_add_co_u32_e32 v6, vcc, v11, v6
	v_addc_co_u32_e32 v11, vcc, 0, v12, vcc
	v_add_co_u32_e32 v4, vcc, v4, v6
	v_addc_co_u32_e32 v5, vcc, v5, v11, vcc
	v_mul_lo_u32 v6, s0, v5
	v_mul_hi_u32 v11, s0, v4
	v_mul_lo_u32 v12, s1, v4
	v_mul_lo_u32 v13, s0, v4
	v_add_u32_e32 v6, v11, v6
	v_add_u32_e32 v6, v6, v12
	v_mul_lo_u32 v14, v4, v6
	v_mul_hi_u32 v15, v4, v13
	v_mul_hi_u32 v16, v4, v6
	v_mul_hi_u32 v12, v5, v13
	v_mul_lo_u32 v13, v5, v13
	v_mul_hi_u32 v11, v5, v6
	v_add_co_u32_e32 v14, vcc, v15, v14
	v_addc_co_u32_e32 v15, vcc, 0, v16, vcc
	v_mul_lo_u32 v6, v5, v6
	v_add_co_u32_e32 v13, vcc, v14, v13
	v_addc_co_u32_e32 v12, vcc, v15, v12, vcc
	v_addc_co_u32_e32 v11, vcc, 0, v11, vcc
	v_add_co_u32_e32 v6, vcc, v12, v6
	v_addc_co_u32_e32 v11, vcc, 0, v11, vcc
	v_add_co_u32_e32 v6, vcc, v4, v6
	v_addc_co_u32_e32 v11, vcc, v5, v11, vcc
	v_mad_u64_u32 v[4:5], s[0:1], v9, v11, 0
	v_mul_hi_u32 v12, v9, v6
	v_add_co_u32_e32 v13, vcc, v12, v4
	v_addc_co_u32_e32 v14, vcc, 0, v5, vcc
	v_mad_u64_u32 v[4:5], s[0:1], v10, v6, 0
	v_mad_u64_u32 v[11:12], s[0:1], v10, v11, 0
	v_add_co_u32_e32 v4, vcc, v13, v4
	v_addc_co_u32_e32 v4, vcc, v14, v5, vcc
	v_addc_co_u32_e32 v5, vcc, 0, v12, vcc
	v_add_co_u32_e32 v11, vcc, v4, v11
	v_addc_co_u32_e32 v6, vcc, 0, v5, vcc
	v_mul_lo_u32 v12, s25, v11
	v_mul_lo_u32 v13, s24, v6
	v_mad_u64_u32 v[4:5], s[0:1], s24, v11, 0
	v_add3_u32 v5, v5, v13, v12
	v_sub_u32_e32 v12, v10, v5
	v_mov_b32_e32 v13, s25
	v_sub_co_u32_e32 v4, vcc, v9, v4
	v_subb_co_u32_e64 v12, s[0:1], v12, v13, vcc
	v_subrev_co_u32_e64 v13, s[0:1], s24, v4
	v_subbrev_co_u32_e64 v12, s[0:1], 0, v12, s[0:1]
	v_cmp_le_u32_e64 s[0:1], s25, v12
	v_cndmask_b32_e64 v14, 0, -1, s[0:1]
	v_cmp_le_u32_e64 s[0:1], s24, v13
	v_cndmask_b32_e64 v13, 0, -1, s[0:1]
	v_cmp_eq_u32_e64 s[0:1], s25, v12
	v_cndmask_b32_e64 v12, v14, v13, s[0:1]
	v_add_co_u32_e64 v13, s[0:1], 2, v11
	v_addc_co_u32_e64 v14, s[0:1], 0, v6, s[0:1]
	v_add_co_u32_e64 v15, s[0:1], 1, v11
	v_addc_co_u32_e64 v16, s[0:1], 0, v6, s[0:1]
	v_subb_co_u32_e32 v5, vcc, v10, v5, vcc
	v_cmp_ne_u32_e64 s[0:1], 0, v12
	v_cmp_le_u32_e32 vcc, s25, v5
	v_cndmask_b32_e64 v12, v16, v14, s[0:1]
	v_cndmask_b32_e64 v14, 0, -1, vcc
	v_cmp_le_u32_e32 vcc, s24, v4
	v_cndmask_b32_e64 v4, 0, -1, vcc
	v_cmp_eq_u32_e32 vcc, s25, v5
	v_cndmask_b32_e32 v4, v14, v4, vcc
	v_cmp_ne_u32_e32 vcc, 0, v4
	v_cndmask_b32_e64 v4, v15, v13, s[0:1]
	v_cndmask_b32_e32 v6, v6, v12, vcc
	v_cndmask_b32_e32 v5, v11, v4, vcc
.LBB0_4:                                ;   in Loop: Header=BB0_2 Depth=1
	s_andn2_saveexec_b64 s[0:1], s[26:27]
	s_cbranch_execz .LBB0_6
; %bb.5:                                ;   in Loop: Header=BB0_2 Depth=1
	v_cvt_f32_u32_e32 v4, s24
	s_sub_i32 s26, 0, s24
	v_rcp_iflag_f32_e32 v4, v4
	v_mul_f32_e32 v4, 0x4f7ffffe, v4
	v_cvt_u32_f32_e32 v4, v4
	v_mul_lo_u32 v5, s26, v4
	v_mul_hi_u32 v5, v4, v5
	v_add_u32_e32 v4, v4, v5
	v_mul_hi_u32 v4, v9, v4
	v_mul_lo_u32 v5, v4, s24
	v_add_u32_e32 v6, 1, v4
	v_sub_u32_e32 v5, v9, v5
	v_subrev_u32_e32 v11, s24, v5
	v_cmp_le_u32_e32 vcc, s24, v5
	v_cndmask_b32_e32 v5, v5, v11, vcc
	v_cndmask_b32_e32 v4, v4, v6, vcc
	v_add_u32_e32 v6, 1, v4
	v_cmp_le_u32_e32 vcc, s24, v5
	v_cndmask_b32_e32 v5, v4, v6, vcc
	v_mov_b32_e32 v6, v3
.LBB0_6:                                ;   in Loop: Header=BB0_2 Depth=1
	s_or_b64 exec, exec, s[0:1]
	v_mul_lo_u32 v4, v6, s24
	v_mul_lo_u32 v13, v5, s25
	v_mad_u64_u32 v[11:12], s[0:1], v5, s24, 0
	s_load_dwordx2 s[0:1], s[6:7], 0x0
	s_load_dwordx2 s[24:25], s[2:3], 0x0
	v_add3_u32 v4, v12, v13, v4
	v_sub_co_u32_e32 v9, vcc, v9, v11
	v_subb_co_u32_e32 v4, vcc, v10, v4, vcc
	s_waitcnt lgkmcnt(0)
	v_mul_lo_u32 v10, s0, v4
	v_mul_lo_u32 v11, s1, v9
	v_mad_u64_u32 v[7:8], s[0:1], s0, v9, v[7:8]
	s_add_u32 s22, s22, 1
	s_addc_u32 s23, s23, 0
	s_add_u32 s2, s2, 8
	v_mul_lo_u32 v4, s24, v4
	v_mul_lo_u32 v12, s25, v9
	v_mad_u64_u32 v[1:2], s[0:1], s24, v9, v[1:2]
	v_add3_u32 v8, v11, v8, v10
	s_addc_u32 s3, s3, 0
	v_mov_b32_e32 v9, s14
	s_add_u32 s6, s6, 8
	v_mov_b32_e32 v10, s15
	s_addc_u32 s7, s7, 0
	v_cmp_ge_u64_e32 vcc, s[22:23], v[9:10]
	s_add_u32 s20, s20, 8
	v_add3_u32 v2, v12, v2, v4
	s_addc_u32 s21, s21, 0
	s_cbranch_vccnz .LBB0_9
; %bb.7:                                ;   in Loop: Header=BB0_2 Depth=1
	v_mov_b32_e32 v10, v6
	v_mov_b32_e32 v9, v5
	s_branch .LBB0_2
.LBB0_8:
	v_mov_b32_e32 v1, v7
	v_mov_b32_e32 v5, v9
	;; [unrolled: 1-line block ×4, first 2 shown]
.LBB0_9:
	s_load_dwordx2 s[4:5], s[4:5], 0x28
	s_lshl_b64 s[6:7], s[14:15], 3
	s_add_u32 s2, s18, s6
	s_addc_u32 s3, s19, s7
                                        ; implicit-def: $vgpr3
	s_waitcnt lgkmcnt(0)
	v_cmp_gt_u64_e64 s[0:1], s[4:5], v[5:6]
	v_cmp_le_u64_e32 vcc, s[4:5], v[5:6]
	s_and_saveexec_b64 s[4:5], vcc
	s_xor_b64 s[4:5], exec, s[4:5]
; %bb.10:
	s_mov_b32 s14, 0x1c71c72
	v_mul_hi_u32 v3, v0, s14
                                        ; implicit-def: $vgpr7_vgpr8
	v_mul_u32_u24_e32 v3, 0x90, v3
	v_sub_u32_e32 v3, v0, v3
                                        ; implicit-def: $vgpr0
; %bb.11:
	s_or_saveexec_b64 s[4:5], s[4:5]
	s_load_dwordx2 s[2:3], s[2:3], 0x0
	s_xor_b64 exec, exec, s[4:5]
	s_cbranch_execz .LBB0_15
; %bb.12:
	s_add_u32 s6, s16, s6
	s_addc_u32 s7, s17, s7
	s_load_dwordx2 s[6:7], s[6:7], 0x0
	s_mov_b32 s14, 0x1c71c72
	v_mul_hi_u32 v3, v0, s14
	v_lshlrev_b64 v[7:8], 2, v[7:8]
	s_waitcnt lgkmcnt(0)
	v_mul_lo_u32 v4, s7, v5
	v_mul_lo_u32 v11, s6, v6
	v_mad_u64_u32 v[9:10], s[6:7], s6, v5, 0
	v_mul_u32_u24_e32 v3, 0x90, v3
	v_sub_u32_e32 v3, v0, v3
	v_add3_u32 v10, v10, v11, v4
	v_lshlrev_b64 v[9:10], 2, v[9:10]
	v_mov_b32_e32 v0, s9
	v_add_co_u32_e32 v4, vcc, s8, v9
	v_addc_co_u32_e32 v0, vcc, v0, v10, vcc
	v_add_co_u32_e32 v4, vcc, v4, v7
	v_addc_co_u32_e32 v0, vcc, v0, v8, vcc
	v_lshlrev_b32_e32 v13, 2, v3
	v_add_co_u32_e32 v7, vcc, v4, v13
	v_addc_co_u32_e32 v8, vcc, 0, v0, vcc
	s_movk_i32 s6, 0x1000
	v_add_co_u32_e32 v9, vcc, s6, v7
	v_addc_co_u32_e32 v10, vcc, 0, v8, vcc
	s_movk_i32 s6, 0x2000
	v_add_co_u32_e32 v11, vcc, s6, v7
	v_addc_co_u32_e32 v12, vcc, 0, v8, vcc
	global_load_dword v14, v[7:8], off offset:1728
	global_load_dword v15, v[7:8], off offset:2304
	global_load_dword v16, v[7:8], off offset:2880
	global_load_dword v17, v[7:8], off offset:3456
	global_load_dword v18, v[7:8], off offset:4032
	global_load_dword v19, v[9:10], off offset:512
	global_load_dword v20, v[9:10], off offset:1088
	global_load_dword v21, v[9:10], off offset:1664
	global_load_dword v22, v[9:10], off offset:2240
	global_load_dword v23, v[9:10], off offset:2816
	global_load_dword v24, v[9:10], off offset:3392
	global_load_dword v25, v[9:10], off offset:3968
	global_load_dword v26, v[11:12], off offset:448
	global_load_dword v27, v[7:8], off
	global_load_dword v28, v[7:8], off offset:1152
	global_load_dword v29, v[7:8], off offset:576
	v_add_co_u32_e32 v7, vcc, 0x3000, v7
	v_or_b32_e32 v9, 0x2400, v13
	v_addc_co_u32_e32 v8, vcc, 0, v8, vcc
	v_add_co_u32_e32 v9, vcc, v4, v9
	v_addc_co_u32_e32 v10, vcc, 0, v0, vcc
	global_load_dword v30, v[9:10], off
	global_load_dword v31, v[7:8], off offset:384
	global_load_dword v32, v[7:8], off offset:960
	;; [unrolled: 1-line block ×7, first 2 shown]
	s_movk_i32 s6, 0x8f
	v_add_u32_e32 v7, 0, v13
	v_add_u32_e32 v8, 0x400, v7
	v_cmp_eq_u32_e32 vcc, s6, v3
	v_add_u32_e32 v9, 0x800, v7
	v_add_u32_e32 v10, 0xc00, v7
	;; [unrolled: 1-line block ×10, first 2 shown]
	s_waitcnt vmcnt(9)
	ds_write2_b32 v8, v28, v14 offset0:32 offset1:176
	ds_write2_b32 v9, v15, v16 offset0:64 offset1:208
	;; [unrolled: 1-line block ×3, first 2 shown]
	s_waitcnt vmcnt(8)
	ds_write2_b32 v7, v27, v29 offset1:144
	ds_write2_b32 v11, v19, v20 offset1:144
	ds_write2_b32 v12, v21, v22 offset0:32 offset1:176
	ds_write2_b32 v13, v23, v24 offset0:64 offset1:208
	;; [unrolled: 1-line block ×3, first 2 shown]
	s_waitcnt vmcnt(4)
	ds_write2_b32 v39, v30, v33 offset1:144
	s_waitcnt vmcnt(2)
	ds_write2_b32 v40, v34, v35 offset0:32 offset1:176
	s_waitcnt vmcnt(0)
	ds_write2_b32 v41, v36, v37 offset0:64 offset1:208
	ds_write2_b32 v42, v31, v32 offset0:96 offset1:240
	s_and_saveexec_b64 s[6:7], vcc
	s_cbranch_execz .LBB0_14
; %bb.13:
	v_add_co_u32_e32 v3, vcc, 0x3000, v4
	v_addc_co_u32_e32 v4, vcc, 0, v0, vcc
	global_load_dword v0, v[3:4], off offset:1536
	v_mov_b32_e32 v3, 0
	s_waitcnt vmcnt(0)
	ds_write_b32 v3, v0 offset:13824
	v_mov_b32_e32 v3, 0x8f
.LBB0_14:
	s_or_b64 exec, exec, s[6:7]
.LBB0_15:
	s_or_b64 exec, exec, s[4:5]
	v_lshlrev_b32_e32 v4, 2, v3
	v_add_u32_e32 v0, 0, v4
	s_waitcnt lgkmcnt(0)
	s_barrier
	v_sub_u32_e32 v9, 0, v4
	ds_read_u16 v12, v0
	ds_read_u16 v13, v9 offset:13824
	s_add_u32 s6, s12, 0x35e8
	s_addc_u32 s7, s13, 0
	v_cmp_ne_u32_e32 vcc, 0, v3
                                        ; implicit-def: $vgpr7_vgpr8
	s_waitcnt lgkmcnt(0)
	v_add_f16_e32 v10, v13, v12
	v_sub_f16_e32 v11, v12, v13
	s_and_saveexec_b64 s[4:5], vcc
	s_xor_b64 s[4:5], exec, s[4:5]
	s_cbranch_execz .LBB0_17
; %bb.16:
	v_mov_b32_e32 v4, 0
	v_lshlrev_b64 v[7:8], 2, v[3:4]
	v_mov_b32_e32 v10, s7
	v_add_co_u32_e32 v7, vcc, s6, v7
	v_addc_co_u32_e32 v8, vcc, v10, v8, vcc
	global_load_dword v7, v[7:8], off
	ds_read_u16 v8, v9 offset:13826
	ds_read_u16 v10, v0 offset:2
	v_add_f16_e32 v11, v13, v12
	v_sub_f16_e32 v12, v12, v13
	s_waitcnt lgkmcnt(0)
	v_add_f16_e32 v13, v8, v10
	v_sub_f16_e32 v8, v10, v8
	s_waitcnt vmcnt(0)
	v_lshrrev_b32_e32 v10, 16, v7
	v_fma_f16 v14, v12, v10, v11
	v_fma_f16 v15, v13, v10, v8
	v_fma_f16 v16, -v12, v10, v11
	v_fma_f16 v8, v13, v10, -v8
	v_fma_f16 v10, -v7, v13, v14
	v_fma_f16 v11, v12, v7, v15
	v_fma_f16 v13, v7, v13, v16
	v_fma_f16 v7, v12, v7, v8
	v_pack_b32_f16 v7, v13, v7
	ds_write_b32 v9, v7 offset:13824
	v_mov_b32_e32 v8, v4
	v_mov_b32_e32 v7, v3
.LBB0_17:
	s_andn2_saveexec_b64 s[4:5], s[4:5]
	s_cbranch_execz .LBB0_19
; %bb.18:
	v_mov_b32_e32 v4, 0
	ds_read_b32 v7, v4 offset:6912
	s_mov_b32 s8, 0xc0004000
	s_waitcnt lgkmcnt(0)
	v_pk_mul_f16 v12, v7, s8
	v_mov_b32_e32 v7, 0
	v_mov_b32_e32 v8, 0
	ds_write_b32 v4, v12 offset:6912
.LBB0_19:
	s_or_b64 exec, exec, s[4:5]
	v_lshlrev_b64 v[7:8], 2, v[7:8]
	v_mov_b32_e32 v4, s7
	v_add_co_u32_e32 v7, vcc, s6, v7
	v_addc_co_u32_e32 v8, vcc, v4, v8, vcc
	global_load_dword v4, v[7:8], off offset:576
	global_load_dword v12, v[7:8], off offset:1152
	;; [unrolled: 1-line block ×4, first 2 shown]
	s_mov_b32 s5, 0x5040100
	s_movk_i32 s4, 0x1000
	v_perm_b32 v10, v11, v10, s5
	ds_write_b32 v0, v10
	v_add_co_u32_e32 v10, vcc, s4, v7
	ds_read_b32 v15, v0 offset:576
	ds_read_b32 v16, v9 offset:13248
	v_addc_co_u32_e32 v11, vcc, 0, v8, vcc
	global_load_dword v17, v[7:8], off offset:2880
	global_load_dword v18, v[7:8], off offset:3456
	;; [unrolled: 1-line block ×4, first 2 shown]
	s_movk_i32 s5, 0x3aee
	s_waitcnt lgkmcnt(0)
	v_add_f16_e32 v7, v15, v16
	v_add_f16_sdwa v8, v16, v15 dst_sel:DWORD dst_unused:UNUSED_PAD src0_sel:WORD_1 src1_sel:WORD_1
	v_sub_f16_e32 v21, v15, v16
	v_sub_f16_sdwa v15, v15, v16 dst_sel:DWORD dst_unused:UNUSED_PAD src0_sel:WORD_1 src1_sel:WORD_1
	s_mov_b32 s6, 0xb8003800
	s_mov_b32 s7, 0xffff
	s_waitcnt vmcnt(7)
	v_lshrrev_b32_e32 v16, 16, v4
	v_fma_f16 v22, v21, v16, v7
	v_fma_f16 v23, v8, v16, v15
	v_fma_f16 v7, -v21, v16, v7
	v_fma_f16 v15, v8, v16, -v15
	v_fma_f16 v16, -v4, v8, v22
	v_fma_f16 v22, v21, v4, v23
	v_fma_f16 v7, v4, v8, v7
	v_fma_f16 v4, v21, v4, v15
	v_pack_b32_f16 v8, v16, v22
	v_pack_b32_f16 v4, v7, v4
	ds_write_b32 v0, v8 offset:576
	ds_write_b32 v9, v4 offset:13248
	ds_read_b32 v4, v0 offset:1152
	ds_read_b32 v7, v9 offset:12672
	s_waitcnt vmcnt(6)
	v_lshrrev_b32_e32 v8, 16, v12
	s_waitcnt lgkmcnt(0)
	v_add_f16_e32 v15, v4, v7
	v_add_f16_sdwa v16, v7, v4 dst_sel:DWORD dst_unused:UNUSED_PAD src0_sel:WORD_1 src1_sel:WORD_1
	v_sub_f16_e32 v21, v4, v7
	v_sub_f16_sdwa v4, v4, v7 dst_sel:DWORD dst_unused:UNUSED_PAD src0_sel:WORD_1 src1_sel:WORD_1
	v_fma_f16 v7, v21, v8, v15
	v_fma_f16 v22, v16, v8, v4
	v_fma_f16 v15, -v21, v8, v15
	v_fma_f16 v4, v16, v8, -v4
	v_fma_f16 v7, -v12, v16, v7
	v_fma_f16 v8, v21, v12, v22
	v_fma_f16 v15, v12, v16, v15
	v_fma_f16 v4, v21, v12, v4
	v_pack_b32_f16 v7, v7, v8
	v_pack_b32_f16 v4, v15, v4
	ds_write_b32 v0, v7 offset:1152
	ds_write_b32 v9, v4 offset:12672
	ds_read_b32 v4, v0 offset:1728
	ds_read_b32 v7, v9 offset:12096
	s_waitcnt vmcnt(5)
	v_lshrrev_b32_e32 v8, 16, v13
	s_waitcnt lgkmcnt(0)
	v_add_f16_e32 v12, v4, v7
	v_add_f16_sdwa v15, v7, v4 dst_sel:DWORD dst_unused:UNUSED_PAD src0_sel:WORD_1 src1_sel:WORD_1
	v_sub_f16_e32 v16, v4, v7
	v_sub_f16_sdwa v4, v4, v7 dst_sel:DWORD dst_unused:UNUSED_PAD src0_sel:WORD_1 src1_sel:WORD_1
	;; [unrolled: 21-line block ×3, first 2 shown]
	v_fma_f16 v7, v15, v8, v12
	v_fma_f16 v16, v13, v8, v4
	v_fma_f16 v12, -v15, v8, v12
	v_fma_f16 v4, v13, v8, -v4
	v_fma_f16 v7, -v14, v13, v7
	v_fma_f16 v8, v15, v14, v16
	v_fma_f16 v12, v14, v13, v12
	;; [unrolled: 1-line block ×3, first 2 shown]
	v_pack_b32_f16 v7, v7, v8
	v_pack_b32_f16 v4, v12, v4
	ds_write_b32 v0, v7 offset:2304
	ds_write_b32 v9, v4 offset:11520
	ds_read_b32 v4, v0 offset:2880
	ds_read_b32 v7, v9 offset:10944
	s_waitcnt vmcnt(3)
	v_lshrrev_b32_e32 v12, 16, v17
	global_load_dword v8, v[10:11], off offset:1088
	s_waitcnt lgkmcnt(0)
	v_add_f16_e32 v13, v4, v7
	v_add_f16_sdwa v14, v7, v4 dst_sel:DWORD dst_unused:UNUSED_PAD src0_sel:WORD_1 src1_sel:WORD_1
	v_sub_f16_e32 v15, v4, v7
	v_sub_f16_sdwa v4, v4, v7 dst_sel:DWORD dst_unused:UNUSED_PAD src0_sel:WORD_1 src1_sel:WORD_1
	v_fma_f16 v7, v15, v12, v13
	v_fma_f16 v16, v14, v12, v4
	v_fma_f16 v13, -v15, v12, v13
	v_fma_f16 v4, v14, v12, -v4
	v_fma_f16 v7, -v17, v14, v7
	v_fma_f16 v12, v15, v17, v16
	v_fma_f16 v13, v17, v14, v13
	;; [unrolled: 1-line block ×3, first 2 shown]
	v_pack_b32_f16 v7, v7, v12
	v_pack_b32_f16 v4, v13, v4
	ds_write_b32 v0, v7 offset:2880
	ds_write_b32 v9, v4 offset:10944
	ds_read_b32 v4, v0 offset:3456
	ds_read_b32 v7, v9 offset:10368
	s_waitcnt vmcnt(3)
	v_lshrrev_b32_e32 v13, 16, v18
	global_load_dword v12, v[10:11], off offset:1664
	s_waitcnt lgkmcnt(0)
	v_add_f16_e32 v14, v4, v7
	v_add_f16_sdwa v15, v7, v4 dst_sel:DWORD dst_unused:UNUSED_PAD src0_sel:WORD_1 src1_sel:WORD_1
	v_sub_f16_e32 v16, v4, v7
	v_sub_f16_sdwa v4, v4, v7 dst_sel:DWORD dst_unused:UNUSED_PAD src0_sel:WORD_1 src1_sel:WORD_1
	v_fma_f16 v7, v16, v13, v14
	v_fma_f16 v17, v15, v13, v4
	v_fma_f16 v14, -v16, v13, v14
	v_fma_f16 v4, v15, v13, -v4
	v_fma_f16 v7, -v18, v15, v7
	v_fma_f16 v13, v16, v18, v17
	v_fma_f16 v14, v18, v15, v14
	;; [unrolled: 1-line block ×3, first 2 shown]
	v_pack_b32_f16 v7, v7, v13
	v_pack_b32_f16 v4, v14, v4
	ds_write_b32 v0, v7 offset:3456
	ds_write_b32 v9, v4 offset:10368
	ds_read_b32 v4, v0 offset:4032
	ds_read_b32 v7, v9 offset:9792
	s_waitcnt vmcnt(3)
	v_lshrrev_b32_e32 v13, 16, v19
	v_add_u32_e32 v18, 0xc00, v0
	s_waitcnt lgkmcnt(0)
	v_add_f16_e32 v14, v4, v7
	v_add_f16_sdwa v15, v7, v4 dst_sel:DWORD dst_unused:UNUSED_PAD src0_sel:WORD_1 src1_sel:WORD_1
	v_sub_f16_e32 v16, v4, v7
	v_sub_f16_sdwa v4, v4, v7 dst_sel:DWORD dst_unused:UNUSED_PAD src0_sel:WORD_1 src1_sel:WORD_1
	v_fma_f16 v7, v16, v13, v14
	v_fma_f16 v17, v15, v13, v4
	v_fma_f16 v7, -v19, v15, v7
	v_fma_f16 v17, v16, v19, v17
	v_pack_b32_f16 v7, v7, v17
	ds_write_b32 v0, v7 offset:4032
	v_fma_f16 v7, -v16, v13, v14
	v_fma_f16 v4, v15, v13, -v4
	v_fma_f16 v7, v19, v15, v7
	v_fma_f16 v4, v16, v19, v4
	v_pack_b32_f16 v4, v7, v4
	ds_write_b32 v9, v4 offset:9792
	global_load_dword v4, v[10:11], off offset:2240
	ds_read_b32 v7, v0 offset:4608
	ds_read_b32 v10, v9 offset:9216
	v_add_u32_e32 v17, 0x2800, v0
	s_waitcnt lgkmcnt(0)
	v_add_f16_e32 v11, v7, v10
	v_add_f16_sdwa v13, v10, v7 dst_sel:DWORD dst_unused:UNUSED_PAD src0_sel:WORD_1 src1_sel:WORD_1
	v_sub_f16_e32 v14, v7, v10
	v_sub_f16_sdwa v7, v7, v10 dst_sel:DWORD dst_unused:UNUSED_PAD src0_sel:WORD_1 src1_sel:WORD_1
	s_waitcnt vmcnt(3)
	v_lshrrev_b32_e32 v10, 16, v20
	v_fma_f16 v15, v14, v10, v11
	v_fma_f16 v16, v13, v10, v7
	v_fma_f16 v11, -v14, v10, v11
	v_fma_f16 v7, v13, v10, -v7
	v_fma_f16 v15, -v20, v13, v15
	v_fma_f16 v16, v14, v20, v16
	v_fma_f16 v11, v20, v13, v11
	v_fma_f16 v7, v14, v20, v7
	v_pack_b32_f16 v15, v15, v16
	v_pack_b32_f16 v7, v11, v7
	ds_write_b32 v0, v15 offset:4608
	ds_write_b32 v9, v7 offset:9216
	ds_read_b32 v7, v0 offset:5184
	ds_read_b32 v10, v9 offset:8640
	s_waitcnt lgkmcnt(0)
	v_add_f16_e32 v11, v7, v10
	v_add_f16_sdwa v13, v10, v7 dst_sel:DWORD dst_unused:UNUSED_PAD src0_sel:WORD_1 src1_sel:WORD_1
	v_sub_f16_e32 v14, v7, v10
	v_sub_f16_sdwa v7, v7, v10 dst_sel:DWORD dst_unused:UNUSED_PAD src0_sel:WORD_1 src1_sel:WORD_1
	s_waitcnt vmcnt(2)
	v_lshrrev_b32_e32 v10, 16, v8
	v_fma_f16 v15, v14, v10, v11
	v_fma_f16 v16, v13, v10, v7
	v_fma_f16 v11, -v14, v10, v11
	v_fma_f16 v7, v13, v10, -v7
	v_fma_f16 v15, -v8, v13, v15
	v_fma_f16 v16, v14, v8, v16
	v_fma_f16 v11, v8, v13, v11
	v_fma_f16 v7, v14, v8, v7
	v_pack_b32_f16 v15, v15, v16
	v_pack_b32_f16 v7, v11, v7
	ds_write_b32 v0, v15 offset:5184
	ds_write_b32 v9, v7 offset:8640
	ds_read_b32 v7, v0 offset:5760
	ds_read_b32 v8, v9 offset:8064
	;; [unrolled: 21-line block ×3, first 2 shown]
	s_waitcnt lgkmcnt(0)
	v_add_f16_e32 v10, v7, v8
	v_add_f16_sdwa v11, v8, v7 dst_sel:DWORD dst_unused:UNUSED_PAD src0_sel:WORD_1 src1_sel:WORD_1
	v_sub_f16_e32 v12, v7, v8
	v_sub_f16_sdwa v7, v7, v8 dst_sel:DWORD dst_unused:UNUSED_PAD src0_sel:WORD_1 src1_sel:WORD_1
	s_waitcnt vmcnt(0)
	v_lshrrev_b32_e32 v8, 16, v4
	v_fma_f16 v13, v12, v8, v10
	v_fma_f16 v14, v11, v8, v7
	v_fma_f16 v10, -v12, v8, v10
	v_fma_f16 v7, v11, v8, -v7
	v_fma_f16 v13, -v4, v11, v13
	v_fma_f16 v14, v12, v4, v14
	v_fma_f16 v10, v4, v11, v10
	;; [unrolled: 1-line block ×3, first 2 shown]
	v_pack_b32_f16 v13, v13, v14
	v_pack_b32_f16 v4, v10, v4
	ds_write_b32 v0, v13 offset:6336
	ds_write_b32 v9, v4 offset:7488
	v_add_u32_e32 v9, 0x1200, v0
	s_waitcnt lgkmcnt(0)
	s_barrier
	s_barrier
	ds_read2_b32 v[19:20], v9 offset1:144
	v_add_u32_e32 v4, 0x2400, v0
	ds_read2_b32 v[7:8], v0 offset1:144
	v_add_u32_e32 v12, 0x1a00, v0
	ds_read2_b32 v[21:22], v4 offset1:144
	ds_read2_b32 v[23:24], v12 offset0:64 offset1:208
	v_add_u32_e32 v10, 0x2c00, v0
	ds_read2_b32 v[25:26], v10 offset0:64 offset1:208
	s_waitcnt lgkmcnt(2)
	v_pk_add_f16 v11, v20, v22
	v_pk_fma_f16 v13, v11, 0.5, v8 op_sel_hi:[1,0,1] neg_lo:[1,0,0] neg_hi:[1,0,0]
	v_add_u32_e32 v11, 0x800, v0
	ds_read2_b32 v[27:28], v11 offset0:64 offset1:208
	v_pk_add_f16 v14, v20, v22 neg_lo:[0,1] neg_hi:[0,1]
	v_pk_fma_f16 v41, v14, s5, v13 op_sel:[0,0,1] op_sel_hi:[1,0,0] neg_lo:[1,0,0] neg_hi:[1,0,0]
	v_pk_fma_f16 v42, v14, s5, v13 op_sel:[0,0,1] op_sel_hi:[1,0,0]
	s_waitcnt lgkmcnt(1)
	v_pk_add_f16 v13, v24, v26
	s_waitcnt lgkmcnt(0)
	v_pk_fma_f16 v13, v13, 0.5, v28 op_sel_hi:[1,0,1] neg_lo:[1,0,0] neg_hi:[1,0,0]
	v_pk_add_f16 v14, v24, v26 neg_lo:[0,1] neg_hi:[0,1]
	v_pk_fma_f16 v15, v14, s5, v13 op_sel:[0,0,1] op_sel_hi:[1,0,0]
	v_pk_fma_f16 v13, v14, s5, v13 op_sel:[0,0,1] op_sel_hi:[1,0,0] neg_lo:[1,0,0] neg_hi:[1,0,0]
	v_lshrrev_b32_e32 v14, 16, v13
	v_mul_f16_e32 v16, 0xbaee, v15
	v_fma_f16 v43, v14, 0.5, v16
	v_pk_mul_f16 v14, v13, s5 op_sel_hi:[1,0]
	v_pk_fma_f16 v44, v15, s6, v14 op_sel:[0,0,1] op_sel_hi:[1,1,0]
	v_pk_fma_f16 v45, v15, s6, v14 op_sel:[0,0,1] op_sel_hi:[1,1,0] neg_lo:[0,0,1] neg_hi:[0,0,1]
	v_lshrrev_b32_e32 v14, 16, v15
	v_mul_f16_e32 v13, -0.5, v13
	v_fma_f16 v46, v14, s5, v13
	v_bfi_b32 v13, s7, v44, v45
	v_pk_add_f16 v13, v42, v13
	v_add_f16_e32 v14, v41, v46
	v_alignbit_b32 v47, v14, v13, 16
	v_add_f16_sdwa v14, v41, v43 dst_sel:DWORD dst_unused:UNUSED_PAD src0_sel:WORD_1 src1_sel:DWORD
	v_pack_b32_f16 v48, v14, v13
	v_mul_u32_u24_e32 v13, 6, v3
	v_add_u32_e32 v16, 0x400, v0
	v_pk_add_f16 v8, v8, v20
	v_pk_add_f16 v20, v28, v24
	v_lshl_add_u32 v49, v13, 2, 0
	v_add_u32_e32 v14, 0x1600, v0
	v_add_u32_e32 v15, 0x1e00, v0
	;; [unrolled: 1-line block ×3, first 2 shown]
	ds_read2_b32 v[29:30], v16 offset0:32 offset1:176
	ds_read2_b32 v[31:32], v18 offset0:96 offset1:240
	;; [unrolled: 1-line block ×6, first 2 shown]
	v_pack_b32_f16 v43, v43, v44
	v_alignbit_b32 v44, v42, v41, 16
	v_pk_add_f16 v8, v8, v22
	v_pk_add_f16 v20, v20, v26
	v_pk_add_f16 v43, v44, v43 neg_lo:[0,1] neg_hi:[0,1]
	v_add_u32_e32 v22, 0xd8c, v49
	v_pk_add_f16 v24, v8, v20 neg_lo:[0,1] neg_hi:[0,1]
	s_waitcnt lgkmcnt(0)
	s_barrier
	ds_write2_b32 v22, v24, v43 offset1:1
	v_pk_add_f16 v8, v8, v20
	v_alignbit_b32 v20, v41, v42, 16
	v_alignbit_b32 v22, v46, v45, 16
	v_pk_add_f16 v20, v20, v22 neg_lo:[0,1] neg_hi:[0,1]
	v_add_u32_e32 v22, 0xc00, v49
	ds_write2_b32 v22, v8, v20 offset0:96 offset1:101
	v_pk_add_f16 v8, v33, v37
	v_pk_fma_f16 v8, v8, 0.5, v29 op_sel_hi:[1,0,1] neg_lo:[1,0,0] neg_hi:[1,0,0]
	v_pk_add_f16 v20, v33, v37 neg_lo:[0,1] neg_hi:[0,1]
	v_pk_fma_f16 v22, v20, s5, v8 op_sel:[0,0,1] op_sel_hi:[1,0,0] neg_lo:[1,0,0] neg_hi:[1,0,0]
	v_pk_fma_f16 v8, v20, s5, v8 op_sel:[0,0,1] op_sel_hi:[1,0,0]
	v_pk_add_f16 v20, v35, v39
	v_pk_fma_f16 v20, v20, 0.5, v31 op_sel_hi:[1,0,1] neg_lo:[1,0,0] neg_hi:[1,0,0]
	v_pk_add_f16 v24, v35, v39 neg_lo:[0,1] neg_hi:[0,1]
	v_pk_fma_f16 v26, v24, s5, v20 op_sel:[0,0,1] op_sel_hi:[1,0,0]
	v_pk_fma_f16 v20, v24, s5, v20 op_sel:[0,0,1] op_sel_hi:[1,0,0] neg_lo:[1,0,0] neg_hi:[1,0,0]
	v_lshrrev_b32_e32 v24, 16, v20
	v_mul_f16_e32 v28, 0xbaee, v26
	v_fma_f16 v24, v24, 0.5, v28
	v_pk_mul_f16 v28, v20, s5 op_sel_hi:[1,0]
	v_pk_fma_f16 v41, v26, s6, v28 op_sel:[0,0,1] op_sel_hi:[1,1,0]
	v_pk_fma_f16 v28, v26, s6, v28 op_sel:[0,0,1] op_sel_hi:[1,1,0] neg_lo:[0,0,1] neg_hi:[0,0,1]
	v_lshrrev_b32_e32 v26, 16, v26
	v_mul_f16_e32 v20, -0.5, v20
	v_fma_f16 v20, v26, s5, v20
	v_bfi_b32 v26, s7, v41, v28
	v_pk_add_f16 v26, v8, v26
	v_add_f16_e32 v42, v22, v20
	v_add_f16_sdwa v43, v22, v24 dst_sel:DWORD dst_unused:UNUSED_PAD src0_sel:WORD_1 src1_sel:DWORD
	v_alignbit_b32 v42, v42, v26, 16
	v_pack_b32_f16 v26, v43, v26
	v_add_u32_e32 v43, 0x1b04, v49
	ds_write2_b32 v43, v26, v42 offset1:1
	v_pack_b32_f16 v24, v24, v41
	v_alignbit_b32 v26, v8, v22, 16
	v_pk_add_f16 v24, v26, v24 neg_lo:[0,1] neg_hi:[0,1]
	v_pk_add_f16 v26, v29, v33
	v_pk_add_f16 v29, v31, v35
	;; [unrolled: 1-line block ×4, first 2 shown]
	v_add_u32_e32 v31, 0x1b0c, v49
	v_pk_add_f16 v33, v26, v29 neg_lo:[0,1] neg_hi:[0,1]
	v_alignbit_b32 v8, v22, v8, 16
	v_alignbit_b32 v20, v20, v28, 16
	ds_write2_b32 v31, v33, v24 offset1:1
	v_pk_add_f16 v24, v26, v29
	v_pk_add_f16 v8, v8, v20 neg_lo:[0,1] neg_hi:[0,1]
	v_add_u32_e32 v20, 0x1800, v49
	ds_write2_b32 v20, v24, v8 offset0:192 offset1:197
	v_pk_add_f16 v8, v34, v38
	v_pk_fma_f16 v8, v8, 0.5, v30 op_sel_hi:[1,0,1] neg_lo:[1,0,0] neg_hi:[1,0,0]
	v_pk_add_f16 v22, v36, v40
	v_pk_add_f16 v26, v34, v38 neg_lo:[0,1] neg_hi:[0,1]
	v_pk_fma_f16 v22, v22, 0.5, v32 op_sel_hi:[1,0,1] neg_lo:[1,0,0] neg_hi:[1,0,0]
	v_pk_fma_f16 v28, v26, s5, v8 op_sel:[0,0,1] op_sel_hi:[1,0,0] neg_lo:[1,0,0] neg_hi:[1,0,0]
	v_pk_fma_f16 v8, v26, s5, v8 op_sel:[0,0,1] op_sel_hi:[1,0,0]
	v_pk_add_f16 v26, v36, v40 neg_lo:[0,1] neg_hi:[0,1]
	v_pk_fma_f16 v29, v26, s5, v22 op_sel:[0,0,1] op_sel_hi:[1,0,0]
	v_pk_fma_f16 v22, v26, s5, v22 op_sel:[0,0,1] op_sel_hi:[1,0,0] neg_lo:[1,0,0] neg_hi:[1,0,0]
	v_pk_add_f16 v20, v30, v34
	v_lshrrev_b32_e32 v26, 16, v22
	v_mul_f16_e32 v30, 0xbaee, v29
	v_fma_f16 v26, v26, 0.5, v30
	v_pk_mul_f16 v30, v22, s5 op_sel_hi:[1,0]
	v_pk_fma_f16 v31, v29, s6, v30 op_sel:[0,0,1] op_sel_hi:[1,1,0]
	v_pk_fma_f16 v30, v29, s6, v30 op_sel:[0,0,1] op_sel_hi:[1,1,0] neg_lo:[0,0,1] neg_hi:[0,0,1]
	v_lshrrev_b32_e32 v29, 16, v29
	v_mul_f16_e32 v22, -0.5, v22
	v_fma_f16 v22, v29, s5, v22
	v_bfi_b32 v29, s7, v31, v30
	v_pk_add_f16 v24, v32, v36
	v_pk_add_f16 v29, v8, v29
	v_add_f16_e32 v32, v28, v22
	v_add_f16_sdwa v33, v28, v26 dst_sel:DWORD dst_unused:UNUSED_PAD src0_sel:WORD_1 src1_sel:DWORD
	v_alignbit_b32 v32, v32, v29, 16
	v_pack_b32_f16 v29, v33, v29
	v_add_u32_e32 v33, 0x2884, v49
	ds_write2_b32 v33, v29, v32 offset1:1
	v_pk_add_f16 v20, v20, v38
	v_pk_add_f16 v24, v24, v40
	v_pack_b32_f16 v26, v26, v31
	v_alignbit_b32 v29, v8, v28, 16
	v_pk_add_f16 v26, v29, v26 neg_lo:[0,1] neg_hi:[0,1]
	v_add_u32_e32 v29, 0x288c, v49
	v_pk_add_f16 v31, v20, v24 neg_lo:[0,1] neg_hi:[0,1]
	ds_write2_b32 v29, v31, v26 offset1:1
	v_pk_add_f16 v26, v7, v19
	v_pk_add_f16 v29, v19, v21
	v_pk_add_f16 v19, v19, v21 neg_lo:[0,1] neg_hi:[0,1]
	v_pk_add_f16 v21, v26, v21
	v_pk_add_f16 v26, v27, v23
	;; [unrolled: 1-line block ×3, first 2 shown]
	v_pk_add_f16 v23, v23, v25 neg_lo:[0,1] neg_hi:[0,1]
	v_pk_add_f16 v25, v26, v25
	v_pk_fma_f16 v7, v29, 0.5, v7 op_sel_hi:[1,0,1] neg_lo:[1,0,0] neg_hi:[1,0,0]
	v_pk_fma_f16 v26, v31, 0.5, v27 op_sel_hi:[1,0,1] neg_lo:[1,0,0] neg_hi:[1,0,0]
	v_pk_fma_f16 v27, v19, s5, v7 op_sel:[0,0,1] op_sel_hi:[1,0,0] neg_lo:[1,0,0] neg_hi:[1,0,0]
	v_pk_fma_f16 v7, v19, s5, v7 op_sel:[0,0,1] op_sel_hi:[1,0,0]
	v_pk_fma_f16 v19, v23, s5, v26 op_sel:[0,0,1] op_sel_hi:[1,0,0]
	v_pk_fma_f16 v23, v23, s5, v26 op_sel:[0,0,1] op_sel_hi:[1,0,0] neg_lo:[1,0,0] neg_hi:[1,0,0]
	v_lshrrev_b32_e32 v26, 16, v23
	v_mul_f16_e32 v29, 0xbaee, v19
	v_fma_f16 v26, v26, 0.5, v29
	v_pk_mul_f16 v29, v23, s5 op_sel_hi:[1,0]
	v_pk_fma_f16 v31, v19, s6, v29 op_sel:[0,0,1] op_sel_hi:[1,1,0]
	v_pk_fma_f16 v29, v19, s6, v29 op_sel:[0,0,1] op_sel_hi:[1,1,0] neg_lo:[0,0,1] neg_hi:[0,0,1]
	v_lshrrev_b32_e32 v19, 16, v19
	v_mul_f16_e32 v23, -0.5, v23
	v_fma_f16 v19, v19, s5, v23
	v_bfi_b32 v23, s7, v31, v29
	v_pk_add_f16 v23, v7, v23
	v_add_f16_e32 v32, v27, v19
	v_add_f16_sdwa v33, v27, v26 dst_sel:DWORD dst_unused:UNUSED_PAD src0_sel:WORD_1 src1_sel:DWORD
	v_alignbit_b32 v32, v32, v23, 16
	v_pack_b32_f16 v23, v33, v23
	ds_write2_b32 v49, v23, v32 offset0:1 offset1:2
	v_pack_b32_f16 v23, v26, v31
	v_alignbit_b32 v26, v7, v27, 16
	v_alignbit_b32 v7, v27, v7, 16
	;; [unrolled: 1-line block ×3, first 2 shown]
	v_pk_add_f16 v23, v26, v23 neg_lo:[0,1] neg_hi:[0,1]
	v_pk_add_f16 v26, v21, v25 neg_lo:[0,1] neg_hi:[0,1]
	v_pk_add_f16 v21, v21, v25
	v_pk_add_f16 v7, v7, v19 neg_lo:[0,1] neg_hi:[0,1]
	v_alignbit_b32 v8, v28, v8, 16
	v_alignbit_b32 v19, v22, v30, 16
	ds_write2_b32 v49, v21, v7 offset1:5
	v_pk_add_f16 v7, v20, v24
	v_pk_add_f16 v8, v8, v19 neg_lo:[0,1] neg_hi:[0,1]
	v_add_u32_e32 v19, 0x2800, v49
	s_movk_i32 s6, 0xab
	ds_write2_b32 v19, v7, v8 offset0:32 offset1:37
	v_mul_lo_u16_sdwa v7, v3, s6 dst_sel:DWORD dst_unused:UNUSED_PAD src0_sel:BYTE_0 src1_sel:DWORD
	v_lshrrev_b16_e32 v21, 10, v7
	v_mul_lo_u16_e32 v7, 6, v21
	ds_write2_b32 v49, v26, v23 offset0:3 offset1:4
	v_sub_u16_e32 v26, v3, v7
	v_mov_b32_e32 v8, 5
	v_mul_u32_u24_sdwa v7, v26, v8 dst_sel:DWORD dst_unused:UNUSED_PAD src0_sel:BYTE_0 src1_sel:DWORD
	v_add_u32_e32 v50, 0xd84, v49
	v_lshlrev_b32_e32 v49, 2, v7
	ds_write2_b32 v50, v48, v47 offset1:1
	s_waitcnt lgkmcnt(0)
	s_barrier
	global_load_dwordx4 v[29:32], v49, s[12:13]
	global_load_dword v54, v49, s[12:13] offset:16
	s_mov_b32 s6, 0xaaab
	v_add_u32_e32 v19, 0x90, v3
	v_mul_u32_u24_sdwa v7, v19, s6 dst_sel:DWORD dst_unused:UNUSED_PAD src0_sel:WORD_0 src1_sel:DWORD
	v_lshrrev_b32_e32 v22, 18, v7
	v_mul_lo_u16_e32 v7, 6, v22
	v_sub_u16_e32 v23, v19, v7
	v_mul_u32_u24_e32 v7, 5, v23
	v_lshlrev_b32_e32 v51, 2, v7
	global_load_dwordx4 v[33:36], v51, s[12:13]
	v_add_u32_e32 v7, 0x120, v3
	v_mul_u32_u24_sdwa v20, v7, s6 dst_sel:DWORD dst_unused:UNUSED_PAD src0_sel:WORD_0 src1_sel:DWORD
	v_lshrrev_b32_e32 v24, 18, v20
	v_mul_lo_u16_e32 v20, 6, v24
	v_sub_u16_e32 v25, v7, v20
	v_mul_u32_u24_e32 v20, 5, v25
	v_lshlrev_b32_e32 v52, 2, v20
	global_load_dwordx4 v[37:40], v52, s[12:13]
	;; [unrolled: 8-line block ×3, first 2 shown]
	ds_read2_b32 v[45:46], v11 offset0:64 offset1:208
	global_load_dword v52, v52, s[12:13] offset:16
	ds_read2_b32 v[47:48], v9 offset1:144
	global_load_dword v51, v51, s[12:13] offset:16
	s_mov_b32 s6, 0xbaee
	s_waitcnt lgkmcnt(1)
	v_lshrrev_b32_e32 v50, 16, v45
	global_load_dword v53, v53, s[12:13] offset:16
	v_mul_u32_u24_e32 v22, 0x90, v22
	v_lshlrev_b32_e32 v23, 2, v23
	v_add3_u32 v22, 0, v22, v23
	v_mul_u32_u24_e32 v24, 0x90, v24
	v_lshlrev_b32_e32 v25, 2, v25
	v_add3_u32 v24, 0, v24, v25
	;; [unrolled: 3-line block ×3, first 2 shown]
	s_mov_b32 s7, 0xe38f
	s_waitcnt vmcnt(7)
	v_mul_f16_sdwa v49, v29, v45 dst_sel:DWORD dst_unused:UNUSED_PAD src0_sel:WORD_1 src1_sel:DWORD
	v_fma_f16 v55, v29, v50, -v49
	v_mul_f16_sdwa v49, v29, v50 dst_sel:DWORD dst_unused:UNUSED_PAD src0_sel:WORD_1 src1_sel:DWORD
	v_fma_f16 v45, v29, v45, v49
	s_waitcnt lgkmcnt(0)
	v_lshrrev_b32_e32 v29, 16, v47
	ds_read2_b32 v[49:50], v12 offset0:64 offset1:208
	v_mul_f16_sdwa v56, v30, v47 dst_sel:DWORD dst_unused:UNUSED_PAD src0_sel:WORD_1 src1_sel:DWORD
	v_fma_f16 v56, v30, v29, -v56
	v_mul_f16_sdwa v29, v30, v29 dst_sel:DWORD dst_unused:UNUSED_PAD src0_sel:WORD_1 src1_sel:DWORD
	v_fma_f16 v47, v30, v47, v29
	ds_read2_b32 v[29:30], v4 offset1:144
	s_waitcnt lgkmcnt(1)
	v_lshrrev_b32_e32 v57, 16, v49
	v_mul_f16_sdwa v58, v49, v31 dst_sel:DWORD dst_unused:UNUSED_PAD src0_sel:DWORD src1_sel:WORD_1
	v_fma_f16 v58, v57, v31, -v58
	v_mul_f16_sdwa v57, v57, v31 dst_sel:DWORD dst_unused:UNUSED_PAD src0_sel:DWORD src1_sel:WORD_1
	v_fma_f16 v49, v49, v31, v57
	s_waitcnt lgkmcnt(0)
	v_lshrrev_b32_e32 v31, 16, v29
	v_mul_f16_sdwa v57, v29, v32 dst_sel:DWORD dst_unused:UNUSED_PAD src0_sel:DWORD src1_sel:WORD_1
	v_fma_f16 v57, v31, v32, -v57
	v_mul_f16_sdwa v31, v31, v32 dst_sel:DWORD dst_unused:UNUSED_PAD src0_sel:DWORD src1_sel:WORD_1
	v_fma_f16 v59, v29, v32, v31
	v_lshrrev_b32_e32 v29, 16, v46
	s_waitcnt vmcnt(5)
	v_mul_f16_sdwa v31, v29, v33 dst_sel:DWORD dst_unused:UNUSED_PAD src0_sel:DWORD src1_sel:WORD_1
	v_fma_f16 v60, v46, v33, v31
	v_mul_f16_sdwa v31, v46, v33 dst_sel:DWORD dst_unused:UNUSED_PAD src0_sel:DWORD src1_sel:WORD_1
	v_fma_f16 v46, v29, v33, -v31
	v_lshrrev_b32_e32 v29, 16, v48
	v_mul_f16_sdwa v31, v29, v34 dst_sel:DWORD dst_unused:UNUSED_PAD src0_sel:DWORD src1_sel:WORD_1
	v_fma_f16 v61, v48, v34, v31
	v_mul_f16_sdwa v31, v48, v34 dst_sel:DWORD dst_unused:UNUSED_PAD src0_sel:DWORD src1_sel:WORD_1
	v_fma_f16 v48, v29, v34, -v31
	v_lshrrev_b32_e32 v29, 16, v50
	;; [unrolled: 5-line block ×3, first 2 shown]
	ds_read2_b32 v[31:32], v18 offset0:96 offset1:240
	v_mul_f16_sdwa v33, v29, v36 dst_sel:DWORD dst_unused:UNUSED_PAD src0_sel:DWORD src1_sel:WORD_1
	v_fma_f16 v63, v30, v36, v33
	v_mul_f16_sdwa v30, v30, v36 dst_sel:DWORD dst_unused:UNUSED_PAD src0_sel:DWORD src1_sel:WORD_1
	v_fma_f16 v64, v29, v36, -v30
	ds_read2_b32 v[29:30], v14 offset0:32 offset1:176
	s_waitcnt lgkmcnt(1)
	v_lshrrev_b32_e32 v33, 16, v31
	s_waitcnt vmcnt(4)
	v_mul_f16_sdwa v34, v31, v37 dst_sel:DWORD dst_unused:UNUSED_PAD src0_sel:DWORD src1_sel:WORD_1
	v_fma_f16 v65, v33, v37, -v34
	v_mul_f16_sdwa v33, v33, v37 dst_sel:DWORD dst_unused:UNUSED_PAD src0_sel:DWORD src1_sel:WORD_1
	v_fma_f16 v37, v31, v37, v33
	ds_read2_b32 v[33:34], v15 offset0:96 offset1:240
	s_waitcnt lgkmcnt(1)
	v_lshrrev_b32_e32 v31, 16, v29
	v_mul_f16_sdwa v35, v29, v38 dst_sel:DWORD dst_unused:UNUSED_PAD src0_sel:DWORD src1_sel:WORD_1
	v_fma_f16 v66, v31, v38, -v35
	ds_read2_b32 v[35:36], v17 offset0:32 offset1:176
	v_mul_f16_sdwa v31, v31, v38 dst_sel:DWORD dst_unused:UNUSED_PAD src0_sel:DWORD src1_sel:WORD_1
	v_fma_f16 v38, v29, v38, v31
	s_waitcnt lgkmcnt(1)
	v_lshrrev_b32_e32 v29, 16, v33
	v_mul_f16_sdwa v31, v33, v39 dst_sel:DWORD dst_unused:UNUSED_PAD src0_sel:DWORD src1_sel:WORD_1
	v_fma_f16 v67, v29, v39, -v31
	v_mul_f16_sdwa v29, v29, v39 dst_sel:DWORD dst_unused:UNUSED_PAD src0_sel:DWORD src1_sel:WORD_1
	v_fma_f16 v39, v33, v39, v29
	s_waitcnt lgkmcnt(0)
	v_lshrrev_b32_e32 v29, 16, v35
	v_mul_f16_sdwa v31, v35, v40 dst_sel:DWORD dst_unused:UNUSED_PAD src0_sel:DWORD src1_sel:WORD_1
	v_fma_f16 v68, v29, v40, -v31
	v_mul_f16_sdwa v29, v29, v40 dst_sel:DWORD dst_unused:UNUSED_PAD src0_sel:DWORD src1_sel:WORD_1
	v_fma_f16 v40, v35, v40, v29
	v_lshrrev_b32_e32 v29, 16, v32
	s_waitcnt vmcnt(3)
	v_mul_f16_sdwa v31, v29, v41 dst_sel:DWORD dst_unused:UNUSED_PAD src0_sel:DWORD src1_sel:WORD_1
	v_fma_f16 v69, v32, v41, v31
	v_mul_f16_sdwa v31, v32, v41 dst_sel:DWORD dst_unused:UNUSED_PAD src0_sel:DWORD src1_sel:WORD_1
	v_fma_f16 v41, v29, v41, -v31
	v_lshrrev_b32_e32 v29, 16, v30
	v_mul_f16_sdwa v31, v29, v42 dst_sel:DWORD dst_unused:UNUSED_PAD src0_sel:DWORD src1_sel:WORD_1
	v_fma_f16 v70, v30, v42, v31
	v_mul_f16_sdwa v30, v30, v42 dst_sel:DWORD dst_unused:UNUSED_PAD src0_sel:DWORD src1_sel:WORD_1
	v_fma_f16 v42, v29, v42, -v30
	v_lshrrev_b32_e32 v29, 16, v34
	v_mul_f16_sdwa v30, v29, v43 dst_sel:DWORD dst_unused:UNUSED_PAD src0_sel:DWORD src1_sel:WORD_1
	v_fma_f16 v71, v34, v43, v30
	v_mul_f16_sdwa v30, v34, v43 dst_sel:DWORD dst_unused:UNUSED_PAD src0_sel:DWORD src1_sel:WORD_1
	v_lshrrev_b32_e32 v31, 16, v36
	v_fma_f16 v43, v29, v43, -v30
	ds_read2_b32 v[29:30], v10 offset0:64 offset1:208
	v_mul_f16_sdwa v32, v31, v44 dst_sel:DWORD dst_unused:UNUSED_PAD src0_sel:DWORD src1_sel:WORD_1
	v_fma_f16 v72, v36, v44, v32
	v_mul_f16_sdwa v32, v36, v44 dst_sel:DWORD dst_unused:UNUSED_PAD src0_sel:DWORD src1_sel:WORD_1
	v_fma_f16 v44, v31, v44, -v32
	ds_read2_b32 v[31:32], v0 offset1:144
	s_waitcnt lgkmcnt(1)
	v_lshrrev_b32_e32 v33, 16, v29
	v_mul_f16_sdwa v34, v29, v54 dst_sel:DWORD dst_unused:UNUSED_PAD src0_sel:DWORD src1_sel:WORD_1
	v_fma_f16 v34, v33, v54, -v34
	v_mul_f16_sdwa v33, v33, v54 dst_sel:DWORD dst_unused:UNUSED_PAD src0_sel:DWORD src1_sel:WORD_1
	v_fma_f16 v29, v29, v54, v33
	s_waitcnt lgkmcnt(0)
	v_lshrrev_b32_e32 v33, 16, v31
	v_add_f16_e32 v35, v33, v56
	v_add_f16_e32 v54, v35, v57
	;; [unrolled: 1-line block ×3, first 2 shown]
	v_sub_f16_e32 v73, v56, v57
	v_fma_f16 v56, v35, -0.5, v33
	v_add_f16_e32 v33, v31, v47
	v_add_f16_e32 v35, v55, v58
	v_add_f16_e32 v57, v33, v59
	v_add_f16_e32 v33, v47, v59
	v_sub_f16_e32 v47, v47, v59
	v_add_f16_e32 v59, v35, v34
	v_sub_f16_e32 v74, v58, v34
	v_add_f16_e32 v34, v58, v34
	v_fma_f16 v55, v34, -0.5, v55
	v_add_f16_e32 v34, v49, v29
	v_fma_f16 v58, v34, -0.5, v45
	v_add_f16_e32 v34, v45, v49
	v_add_f16_e32 v45, v34, v29
	v_sub_f16_e32 v29, v49, v29
	v_fma_f16 v35, v29, s5, v55
	v_fma_f16 v34, v74, s6, v58
	v_mul_f16_e32 v36, 0xbaee, v35
	v_mul_f16_e32 v35, 0.5, v35
	v_fma_f16 v29, v29, s6, v55
	v_fma_f16 v49, v34, 0.5, v36
	v_fma_f16 v75, v34, s5, v35
	v_mul_u32_u24_e32 v34, 0x90, v21
	v_mov_b32_e32 v21, 2
	v_fma_f16 v31, v33, -0.5, v31
	v_fma_f16 v78, v47, s5, v56
	v_fma_f16 v47, v47, s6, v56
	;; [unrolled: 1-line block ×3, first 2 shown]
	v_mul_f16_e32 v55, 0xbaee, v29
	v_mul_f16_e32 v29, -0.5, v29
	v_lshlrev_b32_sdwa v26, v21, v26 dst_sel:DWORD dst_unused:UNUSED_PAD src0_sel:DWORD src1_sel:BYTE_0
	v_fma_f16 v77, v73, s6, v31
	v_fma_f16 v31, v73, s5, v31
	v_fma_f16 v55, v56, -0.5, v55
	v_fma_f16 v29, v56, s5, v29
	v_add3_u32 v26, 0, v34, v26
	v_add_f16_e32 v34, v57, v45
	v_add_f16_e32 v35, v54, v59
	v_sub_f16_e32 v45, v57, v45
	v_sub_f16_e32 v54, v54, v59
	v_add_f16_e32 v56, v31, v55
	v_add_f16_e32 v57, v47, v29
	v_pack_b32_f16 v76, v34, v35
	v_add_f16_e32 v33, v77, v49
	v_add_f16_e32 v34, v78, v75
	v_pack_b32_f16 v56, v56, v57
	v_pack_b32_f16 v45, v45, v54
	;; [unrolled: 1-line block ×3, first 2 shown]
	ds_read2_b32 v[33:34], v16 offset0:32 offset1:176
	ds_read2_b32 v[35:36], v13 offset0:96 offset1:240
	s_waitcnt vmcnt(0) lgkmcnt(0)
	s_barrier
	ds_write2_b32 v26, v56, v45 offset0:12 offset1:18
	v_sub_f16_e32 v45, v77, v49
	v_sub_f16_e32 v31, v31, v55
	;; [unrolled: 1-line block ×4, first 2 shown]
	v_pack_b32_f16 v45, v45, v49
	v_pack_b32_f16 v29, v31, v29
	ds_write2_b32 v26, v76, v79 offset1:6
	ds_write2_b32 v26, v45, v29 offset0:24 offset1:30
	v_lshrrev_b32_e32 v26, 16, v30
	v_mul_f16_sdwa v29, v26, v51 dst_sel:DWORD dst_unused:UNUSED_PAD src0_sel:DWORD src1_sel:WORD_1
	v_fma_f16 v29, v30, v51, v29
	v_mul_f16_sdwa v30, v30, v51 dst_sel:DWORD dst_unused:UNUSED_PAD src0_sel:DWORD src1_sel:WORD_1
	v_fma_f16 v26, v26, v51, -v30
	v_add_f16_e32 v49, v46, v50
	v_add_f16_e32 v49, v49, v26
	v_sub_f16_e32 v51, v50, v26
	v_add_f16_e32 v26, v50, v26
	v_add_f16_e32 v50, v60, v62
	;; [unrolled: 1-line block ×3, first 2 shown]
	v_lshrrev_b32_e32 v31, 16, v32
	v_fma_f16 v26, v26, -0.5, v46
	v_add_f16_e32 v46, v62, v29
	v_add_f16_e32 v50, v50, v29
	v_sub_f16_e32 v29, v62, v29
	v_fma_f16 v30, v30, -0.5, v32
	v_add_f16_e32 v32, v32, v61
	v_add_f16_e32 v45, v31, v48
	v_fma_f16 v46, v46, -0.5, v60
	v_fma_f16 v55, v29, s5, v26
	v_add_f16_e32 v45, v45, v64
	v_sub_f16_e32 v47, v48, v64
	v_add_f16_e32 v48, v48, v64
	v_add_f16_e32 v32, v32, v63
	v_fma_f16 v54, v51, s6, v46
	v_mul_f16_e32 v56, 0xbaee, v55
	v_mul_f16_e32 v55, 0.5, v55
	v_fma_f16 v31, v48, -0.5, v31
	v_sub_f16_e32 v48, v61, v63
	v_fma_f16 v56, v54, 0.5, v56
	v_fma_f16 v54, v54, s5, v55
	v_add_f16_e32 v23, v32, v50
	v_add_f16_e32 v55, v45, v49
	v_pack_b32_f16 v23, v23, v55
	v_fma_f16 v55, v47, s6, v30
	v_fma_f16 v57, v48, s5, v31
	v_add_f16_e32 v58, v55, v56
	v_add_f16_e32 v59, v57, v54
	v_pack_b32_f16 v58, v58, v59
	v_fma_f16 v26, v29, s6, v26
	ds_write2_b32 v22, v23, v58 offset1:6
	v_fma_f16 v23, v47, s5, v30
	v_fma_f16 v30, v48, s6, v31
	;; [unrolled: 1-line block ×3, first 2 shown]
	v_mul_f16_e32 v29, 0xbaee, v26
	v_mul_f16_e32 v26, -0.5, v26
	v_fma_f16 v29, v31, -0.5, v29
	v_fma_f16 v26, v31, s5, v26
	v_sub_f16_e32 v31, v32, v50
	v_sub_f16_e32 v32, v45, v49
	v_add_f16_e32 v45, v23, v29
	v_add_f16_e32 v46, v30, v26
	v_pack_b32_f16 v45, v45, v46
	v_pack_b32_f16 v31, v31, v32
	ds_write2_b32 v22, v45, v31 offset0:12 offset1:18
	v_sub_f16_e32 v31, v55, v56
	v_sub_f16_e32 v23, v23, v29
	;; [unrolled: 1-line block ×4, first 2 shown]
	v_pack_b32_f16 v29, v31, v29
	v_pack_b32_f16 v23, v23, v26
	ds_write2_b32 v22, v29, v23 offset0:24 offset1:30
	v_lshrrev_b32_e32 v22, 16, v35
	v_mul_f16_sdwa v23, v35, v52 dst_sel:DWORD dst_unused:UNUSED_PAD src0_sel:DWORD src1_sel:WORD_1
	v_fma_f16 v23, v22, v52, -v23
	v_mul_f16_sdwa v22, v22, v52 dst_sel:DWORD dst_unused:UNUSED_PAD src0_sel:DWORD src1_sel:WORD_1
	v_fma_f16 v22, v35, v52, v22
	v_lshrrev_b32_e32 v26, 16, v33
	v_add_f16_e32 v31, v66, v68
	v_add_f16_e32 v29, v26, v66
	v_fma_f16 v26, v31, -0.5, v26
	v_add_f16_e32 v31, v33, v38
	v_add_f16_e32 v32, v38, v40
	v_sub_f16_e32 v35, v38, v40
	v_add_f16_e32 v38, v65, v67
	v_add_f16_e32 v45, v39, v22
	;; [unrolled: 1-line block ×4, first 2 shown]
	v_sub_f16_e32 v40, v67, v23
	v_add_f16_e32 v23, v67, v23
	v_fma_f16 v45, v45, -0.5, v37
	v_add_f16_e32 v37, v37, v39
	v_fma_f16 v23, v23, -0.5, v65
	v_add_f16_e32 v37, v37, v22
	v_sub_f16_e32 v22, v39, v22
	v_fma_f16 v46, v22, s5, v23
	v_add_f16_e32 v29, v29, v68
	v_fma_f16 v39, v40, s6, v45
	v_mul_f16_e32 v47, 0xbaee, v46
	v_mul_f16_e32 v46, 0.5, v46
	v_sub_f16_e32 v30, v66, v68
	v_fma_f16 v47, v39, 0.5, v47
	v_fma_f16 v39, v39, s5, v46
	v_add_f16_e32 v25, v31, v37
	v_add_f16_e32 v46, v29, v38
	v_fma_f16 v32, v32, -0.5, v33
	v_pack_b32_f16 v25, v25, v46
	v_fma_f16 v33, v30, s6, v32
	v_fma_f16 v46, v35, s5, v26
	v_add_f16_e32 v48, v33, v47
	v_add_f16_e32 v49, v46, v39
	v_pack_b32_f16 v48, v48, v49
	v_fma_f16 v22, v22, s6, v23
	ds_write2_b32 v24, v25, v48 offset1:6
	v_fma_f16 v25, v30, s5, v32
	v_fma_f16 v30, v40, s5, v45
	v_mul_f16_e32 v23, 0xbaee, v22
	v_mul_f16_e32 v22, -0.5, v22
	v_fma_f16 v26, v35, s6, v26
	v_fma_f16 v23, v30, -0.5, v23
	v_fma_f16 v22, v30, s5, v22
	v_sub_f16_e32 v30, v31, v37
	v_sub_f16_e32 v29, v29, v38
	v_add_f16_e32 v31, v25, v23
	v_add_f16_e32 v32, v26, v22
	v_pack_b32_f16 v31, v31, v32
	v_pack_b32_f16 v29, v30, v29
	ds_write2_b32 v24, v31, v29 offset0:12 offset1:18
	v_sub_f16_e32 v29, v33, v47
	v_sub_f16_e32 v23, v25, v23
	;; [unrolled: 1-line block ×4, first 2 shown]
	v_pack_b32_f16 v25, v29, v25
	v_pack_b32_f16 v22, v23, v22
	ds_write2_b32 v24, v25, v22 offset0:24 offset1:30
	v_lshrrev_b32_e32 v22, 16, v36
	v_mul_f16_sdwa v24, v36, v53 dst_sel:DWORD dst_unused:UNUSED_PAD src0_sel:DWORD src1_sel:WORD_1
	v_mul_f16_sdwa v23, v22, v53 dst_sel:DWORD dst_unused:UNUSED_PAD src0_sel:DWORD src1_sel:WORD_1
	v_fma_f16 v22, v22, v53, -v24
	v_add_f16_e32 v32, v41, v43
	v_fma_f16 v23, v36, v53, v23
	v_add_f16_e32 v24, v70, v72
	v_add_f16_e32 v32, v32, v22
	v_sub_f16_e32 v33, v43, v22
	v_add_f16_e32 v22, v43, v22
	v_add_f16_e32 v35, v69, v71
	v_fma_f16 v24, v24, -0.5, v34
	v_lshrrev_b32_e32 v25, 16, v34
	v_add_f16_e32 v26, v34, v70
	v_fma_f16 v22, v22, -0.5, v41
	v_add_f16_e32 v34, v71, v23
	v_add_f16_e32 v35, v35, v23
	v_sub_f16_e32 v23, v71, v23
	v_add_f16_e32 v29, v25, v42
	v_fma_f16 v34, v34, -0.5, v69
	v_fma_f16 v37, v23, s5, v22
	v_add_f16_e32 v29, v29, v44
	v_add_f16_e32 v31, v42, v44
	;; [unrolled: 1-line block ×3, first 2 shown]
	v_fma_f16 v36, v33, s6, v34
	v_mul_f16_e32 v38, 0xbaee, v37
	v_mul_f16_e32 v37, 0.5, v37
	v_sub_f16_e32 v30, v42, v44
	v_fma_f16 v25, v31, -0.5, v25
	v_sub_f16_e32 v31, v70, v72
	v_fma_f16 v38, v36, 0.5, v38
	v_fma_f16 v36, v36, s5, v37
	v_add_f16_e32 v28, v26, v35
	v_add_f16_e32 v37, v29, v32
	v_pack_b32_f16 v28, v28, v37
	v_fma_f16 v37, v30, s6, v24
	v_fma_f16 v39, v31, s5, v25
	v_add_f16_e32 v40, v37, v38
	v_add_f16_e32 v41, v39, v36
	v_pack_b32_f16 v40, v40, v41
	v_fma_f16 v22, v23, s6, v22
	ds_write2_b32 v27, v28, v40 offset1:6
	v_fma_f16 v28, v33, s5, v34
	v_mul_f16_e32 v23, 0xbaee, v22
	v_mul_f16_e32 v22, -0.5, v22
	v_fma_f16 v24, v30, s5, v24
	v_fma_f16 v25, v31, s6, v25
	v_fma_f16 v23, v28, -0.5, v23
	v_fma_f16 v22, v28, s5, v22
	v_sub_f16_e32 v26, v26, v35
	v_sub_f16_e32 v28, v29, v32
	v_add_f16_e32 v29, v24, v23
	v_add_f16_e32 v30, v25, v22
	v_pack_b32_f16 v29, v29, v30
	v_pack_b32_f16 v26, v26, v28
	ds_write2_b32 v27, v29, v26 offset0:12 offset1:18
	v_sub_f16_e32 v26, v37, v38
	v_sub_f16_e32 v23, v24, v23
	;; [unrolled: 1-line block ×4, first 2 shown]
	v_pack_b32_f16 v24, v26, v24
	v_pack_b32_f16 v22, v23, v22
	ds_write2_b32 v27, v24, v22 offset0:24 offset1:30
	v_mov_b32_e32 v22, 57
	v_mul_lo_u16_sdwa v22, v3, v22 dst_sel:DWORD dst_unused:UNUSED_PAD src0_sel:BYTE_0 src1_sel:DWORD
	v_lshrrev_b16_e32 v24, 11, v22
	v_mul_lo_u16_e32 v22, 36, v24
	v_sub_u16_e32 v27, v3, v22
	v_mul_u32_u24_sdwa v8, v27, v8 dst_sel:DWORD dst_unused:UNUSED_PAD src0_sel:BYTE_0 src1_sel:DWORD
	v_lshlrev_b32_e32 v48, 2, v8
	s_waitcnt lgkmcnt(0)
	s_barrier
	global_load_dwordx4 v[28:31], v48, s[12:13] offset:120
	global_load_dword v53, v48, s[12:13] offset:136
	v_mul_u32_u24_sdwa v8, v19, s7 dst_sel:DWORD dst_unused:UNUSED_PAD src0_sel:WORD_0 src1_sel:DWORD
	v_lshrrev_b32_e32 v8, 21, v8
	v_mul_lo_u16_e32 v22, 36, v8
	v_sub_u16_e32 v22, v19, v22
	v_mul_u32_u24_e32 v23, 5, v22
	v_lshlrev_b32_e32 v50, 2, v23
	global_load_dwordx4 v[32:35], v50, s[12:13] offset:120
	v_mul_u32_u24_sdwa v23, v7, s7 dst_sel:DWORD dst_unused:UNUSED_PAD src0_sel:WORD_0 src1_sel:DWORD
	v_lshrrev_b32_e32 v23, 21, v23
	v_mul_lo_u16_e32 v25, 36, v23
	v_sub_u16_e32 v7, v7, v25
	v_mul_u32_u24_e32 v25, 5, v7
	v_lshlrev_b32_e32 v51, 2, v25
	global_load_dwordx4 v[36:39], v51, s[12:13] offset:120
	;; [unrolled: 7-line block ×3, first 2 shown]
	ds_read2_b32 v[44:45], v11 offset0:64 offset1:208
	ds_read2_b32 v[46:47], v9 offset1:144
	v_lshlrev_b32_sdwa v21, v21, v27 dst_sel:DWORD dst_unused:UNUSED_PAD src0_sel:DWORD src1_sel:BYTE_0
	v_mul_u32_u24_e32 v24, 0x360, v24
	v_add3_u32 v21, 0, v24, v21
	s_waitcnt lgkmcnt(1)
	v_lshrrev_b32_e32 v49, 16, v44
	v_mul_u32_u24_e32 v8, 0x360, v8
	v_lshlrev_b32_e32 v22, 2, v22
	v_add3_u32 v8, 0, v8, v22
	v_mul_u32_u24_e32 v23, 0x360, v23
	v_lshlrev_b32_e32 v7, 2, v7
	v_add3_u32 v7, 0, v23, v7
	;; [unrolled: 3-line block ×3, first 2 shown]
	s_waitcnt vmcnt(4)
	v_mul_f16_sdwa v48, v28, v44 dst_sel:DWORD dst_unused:UNUSED_PAD src0_sel:WORD_1 src1_sel:DWORD
	v_fma_f16 v54, v28, v49, -v48
	v_mul_f16_sdwa v48, v28, v49 dst_sel:DWORD dst_unused:UNUSED_PAD src0_sel:WORD_1 src1_sel:DWORD
	v_fma_f16 v44, v28, v44, v48
	s_waitcnt lgkmcnt(0)
	v_lshrrev_b32_e32 v28, 16, v46
	v_mul_f16_sdwa v55, v29, v46 dst_sel:DWORD dst_unused:UNUSED_PAD src0_sel:WORD_1 src1_sel:DWORD
	v_fma_f16 v55, v29, v28, -v55
	v_mul_f16_sdwa v28, v29, v28 dst_sel:DWORD dst_unused:UNUSED_PAD src0_sel:WORD_1 src1_sel:DWORD
	ds_read2_b32 v[48:49], v12 offset0:64 offset1:208
	v_fma_f16 v46, v29, v46, v28
	ds_read2_b32 v[28:29], v4 offset1:144
	ds_read_u16 v58, v0 offset:9218
	global_load_dword v50, v50, s[12:13] offset:136
	s_waitcnt lgkmcnt(2)
	v_lshrrev_b32_e32 v56, 16, v48
	global_load_dword v51, v51, s[12:13] offset:136
	v_mul_f16_sdwa v57, v30, v48 dst_sel:DWORD dst_unused:UNUSED_PAD src0_sel:WORD_1 src1_sel:DWORD
	v_fma_f16 v57, v30, v56, -v57
	v_mul_f16_sdwa v56, v30, v56 dst_sel:DWORD dst_unused:UNUSED_PAD src0_sel:WORD_1 src1_sel:DWORD
	v_fma_f16 v48, v30, v48, v56
	s_waitcnt lgkmcnt(1)
	v_mul_f16_sdwa v30, v31, v28 dst_sel:DWORD dst_unused:UNUSED_PAD src0_sel:WORD_1 src1_sel:DWORD
	s_waitcnt lgkmcnt(0)
	v_fma_f16 v56, v58, v31, -v30
	v_mul_f16_sdwa v30, v58, v31 dst_sel:DWORD dst_unused:UNUSED_PAD src0_sel:DWORD src1_sel:WORD_1
	v_fma_f16 v58, v31, v28, v30
	v_lshrrev_b32_e32 v28, 16, v45
	s_waitcnt vmcnt(4)
	v_mul_f16_sdwa v30, v28, v32 dst_sel:DWORD dst_unused:UNUSED_PAD src0_sel:DWORD src1_sel:WORD_1
	v_fma_f16 v59, v45, v32, v30
	v_mul_f16_sdwa v30, v45, v32 dst_sel:DWORD dst_unused:UNUSED_PAD src0_sel:DWORD src1_sel:WORD_1
	v_fma_f16 v45, v28, v32, -v30
	v_lshrrev_b32_e32 v28, 16, v47
	v_mul_f16_sdwa v30, v28, v33 dst_sel:DWORD dst_unused:UNUSED_PAD src0_sel:DWORD src1_sel:WORD_1
	v_fma_f16 v60, v47, v33, v30
	v_mul_f16_sdwa v30, v47, v33 dst_sel:DWORD dst_unused:UNUSED_PAD src0_sel:DWORD src1_sel:WORD_1
	v_fma_f16 v47, v28, v33, -v30
	v_lshrrev_b32_e32 v28, 16, v49
	;; [unrolled: 5-line block ×3, first 2 shown]
	ds_read2_b32 v[30:31], v18 offset0:96 offset1:240
	v_mul_f16_sdwa v32, v28, v35 dst_sel:DWORD dst_unused:UNUSED_PAD src0_sel:DWORD src1_sel:WORD_1
	v_fma_f16 v62, v29, v35, v32
	v_mul_f16_sdwa v29, v29, v35 dst_sel:DWORD dst_unused:UNUSED_PAD src0_sel:DWORD src1_sel:WORD_1
	v_fma_f16 v63, v28, v35, -v29
	ds_read2_b32 v[28:29], v14 offset0:32 offset1:176
	s_waitcnt lgkmcnt(1)
	v_lshrrev_b32_e32 v32, 16, v30
	s_waitcnt vmcnt(3)
	v_mul_f16_sdwa v33, v30, v36 dst_sel:DWORD dst_unused:UNUSED_PAD src0_sel:DWORD src1_sel:WORD_1
	v_fma_f16 v64, v32, v36, -v33
	v_mul_f16_sdwa v32, v32, v36 dst_sel:DWORD dst_unused:UNUSED_PAD src0_sel:DWORD src1_sel:WORD_1
	v_fma_f16 v36, v30, v36, v32
	ds_read2_b32 v[32:33], v15 offset0:96 offset1:240
	s_waitcnt lgkmcnt(1)
	v_lshrrev_b32_e32 v30, 16, v28
	v_mul_f16_sdwa v34, v28, v37 dst_sel:DWORD dst_unused:UNUSED_PAD src0_sel:DWORD src1_sel:WORD_1
	v_fma_f16 v65, v30, v37, -v34
	ds_read2_b32 v[34:35], v17 offset0:32 offset1:176
	v_mul_f16_sdwa v30, v30, v37 dst_sel:DWORD dst_unused:UNUSED_PAD src0_sel:DWORD src1_sel:WORD_1
	v_fma_f16 v37, v28, v37, v30
	s_waitcnt lgkmcnt(1)
	v_lshrrev_b32_e32 v28, 16, v32
	v_mul_f16_sdwa v30, v32, v38 dst_sel:DWORD dst_unused:UNUSED_PAD src0_sel:DWORD src1_sel:WORD_1
	v_fma_f16 v66, v28, v38, -v30
	v_mul_f16_sdwa v28, v28, v38 dst_sel:DWORD dst_unused:UNUSED_PAD src0_sel:DWORD src1_sel:WORD_1
	v_fma_f16 v38, v32, v38, v28
	s_waitcnt lgkmcnt(0)
	v_lshrrev_b32_e32 v28, 16, v34
	v_mul_f16_sdwa v30, v34, v39 dst_sel:DWORD dst_unused:UNUSED_PAD src0_sel:DWORD src1_sel:WORD_1
	v_fma_f16 v67, v28, v39, -v30
	v_mul_f16_sdwa v28, v28, v39 dst_sel:DWORD dst_unused:UNUSED_PAD src0_sel:DWORD src1_sel:WORD_1
	v_fma_f16 v34, v34, v39, v28
	global_load_dword v39, v52, s[12:13] offset:136
	v_lshrrev_b32_e32 v28, 16, v31
	s_waitcnt vmcnt(3)
	v_mul_f16_sdwa v30, v28, v40 dst_sel:DWORD dst_unused:UNUSED_PAD src0_sel:DWORD src1_sel:WORD_1
	v_fma_f16 v52, v31, v40, v30
	v_mul_f16_sdwa v30, v31, v40 dst_sel:DWORD dst_unused:UNUSED_PAD src0_sel:DWORD src1_sel:WORD_1
	v_fma_f16 v40, v28, v40, -v30
	v_lshrrev_b32_e32 v28, 16, v29
	v_mul_f16_sdwa v30, v28, v41 dst_sel:DWORD dst_unused:UNUSED_PAD src0_sel:DWORD src1_sel:WORD_1
	v_fma_f16 v68, v29, v41, v30
	v_mul_f16_sdwa v29, v29, v41 dst_sel:DWORD dst_unused:UNUSED_PAD src0_sel:DWORD src1_sel:WORD_1
	v_fma_f16 v41, v28, v41, -v29
	v_lshrrev_b32_e32 v28, 16, v33
	v_mul_f16_sdwa v29, v28, v42 dst_sel:DWORD dst_unused:UNUSED_PAD src0_sel:DWORD src1_sel:WORD_1
	v_fma_f16 v69, v33, v42, v29
	v_mul_f16_sdwa v29, v33, v42 dst_sel:DWORD dst_unused:UNUSED_PAD src0_sel:DWORD src1_sel:WORD_1
	v_lshrrev_b32_e32 v30, 16, v35
	v_fma_f16 v42, v28, v42, -v29
	ds_read2_b32 v[28:29], v10 offset0:64 offset1:208
	v_mul_f16_sdwa v31, v30, v43 dst_sel:DWORD dst_unused:UNUSED_PAD src0_sel:DWORD src1_sel:WORD_1
	v_fma_f16 v70, v35, v43, v31
	v_mul_f16_sdwa v31, v35, v43 dst_sel:DWORD dst_unused:UNUSED_PAD src0_sel:DWORD src1_sel:WORD_1
	v_fma_f16 v35, v30, v43, -v31
	ds_read2_b32 v[30:31], v0 offset1:144
	s_waitcnt lgkmcnt(1)
	v_lshrrev_b32_e32 v32, 16, v28
	v_mul_f16_sdwa v33, v28, v53 dst_sel:DWORD dst_unused:UNUSED_PAD src0_sel:DWORD src1_sel:WORD_1
	v_fma_f16 v33, v32, v53, -v33
	v_mul_f16_sdwa v32, v32, v53 dst_sel:DWORD dst_unused:UNUSED_PAD src0_sel:DWORD src1_sel:WORD_1
	v_fma_f16 v28, v28, v53, v32
	s_waitcnt lgkmcnt(0)
	v_lshrrev_b32_e32 v32, 16, v30
	v_add_f16_e32 v43, v32, v55
	v_sub_f16_e32 v53, v55, v56
	v_add_f16_e32 v55, v55, v56
	v_fma_f16 v55, v55, -0.5, v32
	v_add_f16_e32 v32, v30, v46
	v_add_f16_e32 v43, v43, v56
	v_add_f16_e32 v56, v32, v58
	v_add_f16_e32 v32, v46, v58
	v_sub_f16_e32 v46, v46, v58
	v_add_f16_e32 v58, v54, v57
	v_add_f16_e32 v58, v58, v33
	v_sub_f16_e32 v71, v57, v33
	v_add_f16_e32 v33, v57, v33
	v_fma_f16 v54, v33, -0.5, v54
	v_add_f16_e32 v33, v48, v28
	v_fma_f16 v57, v33, -0.5, v44
	v_add_f16_e32 v33, v44, v48
	v_sub_f16_e32 v48, v48, v28
	v_add_f16_e32 v44, v33, v28
	v_fma_f16 v33, v48, s5, v54
	v_fma_f16 v28, v71, s6, v57
	v_mul_f16_e32 v72, 0xbaee, v33
	v_mul_f16_e32 v33, 0.5, v33
	v_fma_f16 v30, v32, -0.5, v30
	v_fma_f16 v72, v28, 0.5, v72
	v_fma_f16 v73, v28, s5, v33
	v_add_f16_e32 v24, v56, v44
	v_add_f16_e32 v27, v43, v58
	v_fma_f16 v74, v53, s6, v30
	v_fma_f16 v75, v46, s5, v55
	v_pack_b32_f16 v24, v24, v27
	v_add_f16_e32 v27, v74, v72
	v_add_f16_e32 v28, v75, v73
	v_pack_b32_f16 v76, v27, v28
	v_fma_f16 v48, v48, s6, v54
	ds_read2_b32 v[27:28], v16 offset0:32 offset1:176
	ds_read2_b32 v[32:33], v13 offset0:96 offset1:240
	s_waitcnt vmcnt(0) lgkmcnt(0)
	s_barrier
	ds_write2_b32 v21, v24, v76 offset1:36
	v_fma_f16 v24, v53, s5, v30
	v_fma_f16 v30, v46, s6, v55
	;; [unrolled: 1-line block ×3, first 2 shown]
	v_mul_f16_e32 v53, 0xbaee, v48
	v_mul_f16_e32 v48, -0.5, v48
	v_fma_f16 v53, v46, -0.5, v53
	v_fma_f16 v46, v46, s5, v48
	v_sub_f16_e32 v44, v56, v44
	v_sub_f16_e32 v43, v43, v58
	v_add_f16_e32 v48, v24, v53
	v_add_f16_e32 v54, v30, v46
	v_pack_b32_f16 v48, v48, v54
	v_pack_b32_f16 v43, v44, v43
	ds_write2_b32 v21, v48, v43 offset0:72 offset1:108
	v_sub_f16_e32 v43, v74, v72
	v_sub_f16_e32 v24, v24, v53
	;; [unrolled: 1-line block ×4, first 2 shown]
	v_pack_b32_f16 v43, v43, v44
	v_pack_b32_f16 v24, v24, v30
	ds_write2_b32 v21, v43, v24 offset0:144 offset1:180
	v_lshrrev_b32_e32 v21, 16, v29
	v_mul_f16_sdwa v24, v21, v50 dst_sel:DWORD dst_unused:UNUSED_PAD src0_sel:DWORD src1_sel:WORD_1
	v_fma_f16 v24, v29, v50, v24
	v_mul_f16_sdwa v29, v29, v50 dst_sel:DWORD dst_unused:UNUSED_PAD src0_sel:DWORD src1_sel:WORD_1
	v_lshrrev_b32_e32 v30, 16, v31
	v_fma_f16 v21, v21, v50, -v29
	v_add_f16_e32 v43, v30, v47
	v_sub_f16_e32 v44, v47, v63
	v_add_f16_e32 v46, v47, v63
	v_add_f16_e32 v47, v45, v49
	;; [unrolled: 1-line block ×3, first 2 shown]
	v_sub_f16_e32 v48, v49, v21
	v_add_f16_e32 v21, v49, v21
	v_add_f16_e32 v49, v59, v61
	;; [unrolled: 1-line block ×3, first 2 shown]
	v_fma_f16 v21, v21, -0.5, v45
	v_add_f16_e32 v45, v61, v24
	v_add_f16_e32 v49, v49, v24
	v_sub_f16_e32 v24, v61, v24
	v_fma_f16 v29, v29, -0.5, v31
	v_add_f16_e32 v31, v31, v60
	v_fma_f16 v45, v45, -0.5, v59
	v_fma_f16 v53, v24, s5, v21
	v_add_f16_e32 v43, v43, v63
	v_add_f16_e32 v31, v31, v62
	v_fma_f16 v50, v48, s6, v45
	v_mul_f16_e32 v54, 0xbaee, v53
	v_mul_f16_e32 v53, 0.5, v53
	v_fma_f16 v30, v46, -0.5, v30
	v_sub_f16_e32 v46, v60, v62
	v_fma_f16 v54, v50, 0.5, v54
	v_fma_f16 v50, v50, s5, v53
	v_add_f16_e32 v22, v31, v49
	v_add_f16_e32 v53, v43, v47
	v_pack_b32_f16 v22, v22, v53
	v_fma_f16 v53, v44, s6, v29
	v_fma_f16 v55, v46, s5, v30
	v_add_f16_e32 v56, v53, v54
	v_add_f16_e32 v57, v55, v50
	v_pack_b32_f16 v56, v56, v57
	v_fma_f16 v21, v24, s6, v21
	ds_write2_b32 v8, v22, v56 offset1:36
	v_fma_f16 v22, v44, s5, v29
	v_fma_f16 v29, v46, s6, v30
	;; [unrolled: 1-line block ×3, first 2 shown]
	v_mul_f16_e32 v24, 0xbaee, v21
	v_mul_f16_e32 v21, -0.5, v21
	v_fma_f16 v24, v30, -0.5, v24
	v_fma_f16 v21, v30, s5, v21
	v_sub_f16_e32 v30, v31, v49
	v_sub_f16_e32 v31, v43, v47
	v_add_f16_e32 v43, v22, v24
	v_add_f16_e32 v44, v29, v21
	v_pack_b32_f16 v43, v43, v44
	v_pack_b32_f16 v30, v30, v31
	ds_write2_b32 v8, v43, v30 offset0:72 offset1:108
	v_sub_f16_e32 v30, v53, v54
	v_sub_f16_e32 v22, v22, v24
	v_sub_f16_e32 v24, v55, v50
	v_sub_f16_e32 v21, v29, v21
	v_pack_b32_f16 v24, v30, v24
	v_pack_b32_f16 v21, v22, v21
	ds_write2_b32 v8, v24, v21 offset0:144 offset1:180
	v_lshrrev_b32_e32 v8, 16, v32
	v_mul_f16_sdwa v21, v32, v51 dst_sel:DWORD dst_unused:UNUSED_PAD src0_sel:DWORD src1_sel:WORD_1
	v_fma_f16 v21, v8, v51, -v21
	v_mul_f16_sdwa v8, v8, v51 dst_sel:DWORD dst_unused:UNUSED_PAD src0_sel:DWORD src1_sel:WORD_1
	v_lshrrev_b32_e32 v22, 16, v27
	v_add_f16_e32 v30, v65, v67
	v_fma_f16 v8, v32, v51, v8
	v_add_f16_e32 v24, v22, v65
	v_fma_f16 v22, v30, -0.5, v22
	v_add_f16_e32 v30, v27, v37
	v_add_f16_e32 v30, v30, v34
	;; [unrolled: 1-line block ×3, first 2 shown]
	v_sub_f16_e32 v32, v37, v34
	v_add_f16_e32 v34, v64, v66
	v_add_f16_e32 v43, v38, v8
	;; [unrolled: 1-line block ×3, first 2 shown]
	v_sub_f16_e32 v37, v66, v21
	v_add_f16_e32 v21, v66, v21
	v_fma_f16 v43, v43, -0.5, v36
	v_add_f16_e32 v36, v36, v38
	v_fma_f16 v21, v21, -0.5, v64
	v_add_f16_e32 v36, v36, v8
	v_sub_f16_e32 v8, v38, v8
	v_fma_f16 v44, v8, s5, v21
	v_add_f16_e32 v24, v24, v67
	v_fma_f16 v38, v37, s6, v43
	v_mul_f16_e32 v45, 0xbaee, v44
	v_mul_f16_e32 v44, 0.5, v44
	v_sub_f16_e32 v29, v65, v67
	v_fma_f16 v45, v38, 0.5, v45
	v_fma_f16 v38, v38, s5, v44
	v_add_f16_e32 v23, v30, v36
	v_add_f16_e32 v44, v24, v34
	v_fma_f16 v27, v31, -0.5, v27
	v_pack_b32_f16 v23, v23, v44
	v_fma_f16 v31, v29, s6, v27
	v_fma_f16 v44, v32, s5, v22
	v_add_f16_e32 v46, v31, v45
	v_add_f16_e32 v47, v44, v38
	v_pack_b32_f16 v46, v46, v47
	v_fma_f16 v8, v8, s6, v21
	ds_write2_b32 v7, v23, v46 offset1:36
	v_fma_f16 v23, v29, s5, v27
	v_fma_f16 v27, v37, s5, v43
	v_mul_f16_e32 v21, 0xbaee, v8
	v_mul_f16_e32 v8, -0.5, v8
	v_fma_f16 v22, v32, s6, v22
	v_fma_f16 v21, v27, -0.5, v21
	v_fma_f16 v8, v27, s5, v8
	v_sub_f16_e32 v27, v30, v36
	v_sub_f16_e32 v24, v24, v34
	v_add_f16_e32 v29, v23, v21
	v_add_f16_e32 v30, v22, v8
	v_pack_b32_f16 v29, v29, v30
	v_pack_b32_f16 v24, v27, v24
	ds_write2_b32 v7, v29, v24 offset0:72 offset1:108
	v_sub_f16_e32 v24, v31, v45
	v_sub_f16_e32 v21, v23, v21
	;; [unrolled: 1-line block ×4, first 2 shown]
	v_pack_b32_f16 v22, v24, v23
	v_pack_b32_f16 v8, v21, v8
	ds_write2_b32 v7, v22, v8 offset0:144 offset1:180
	v_lshrrev_b32_e32 v7, 16, v33
	v_mul_f16_sdwa v21, v33, v39 dst_sel:DWORD dst_unused:UNUSED_PAD src0_sel:DWORD src1_sel:WORD_1
	v_mul_f16_sdwa v8, v7, v39 dst_sel:DWORD dst_unused:UNUSED_PAD src0_sel:DWORD src1_sel:WORD_1
	v_fma_f16 v7, v7, v39, -v21
	v_add_f16_e32 v29, v40, v42
	v_fma_f16 v8, v33, v39, v8
	v_add_f16_e32 v29, v29, v7
	v_sub_f16_e32 v30, v42, v7
	v_add_f16_e32 v7, v42, v7
	v_add_f16_e32 v32, v52, v69
	v_lshrrev_b32_e32 v22, 16, v28
	v_fma_f16 v7, v7, -0.5, v40
	v_add_f16_e32 v31, v69, v8
	v_add_f16_e32 v32, v32, v8
	v_sub_f16_e32 v8, v69, v8
	v_add_f16_e32 v21, v68, v70
	v_add_f16_e32 v23, v28, v68
	;; [unrolled: 1-line block ×3, first 2 shown]
	v_fma_f16 v31, v31, -0.5, v52
	v_fma_f16 v34, v8, s5, v7
	v_fma_f16 v21, v21, -0.5, v28
	v_add_f16_e32 v24, v24, v35
	v_sub_f16_e32 v27, v41, v35
	v_add_f16_e32 v28, v41, v35
	v_add_f16_e32 v23, v23, v70
	v_fma_f16 v33, v30, s6, v31
	v_mul_f16_e32 v35, 0xbaee, v34
	v_mul_f16_e32 v34, 0.5, v34
	v_fma_f16 v22, v28, -0.5, v22
	v_sub_f16_e32 v28, v68, v70
	v_fma_f16 v35, v33, 0.5, v35
	v_fma_f16 v33, v33, s5, v34
	v_add_f16_e32 v26, v23, v32
	v_add_f16_e32 v34, v24, v29
	v_pack_b32_f16 v26, v26, v34
	v_fma_f16 v34, v27, s6, v21
	v_fma_f16 v36, v28, s5, v22
	v_add_f16_e32 v37, v34, v35
	v_add_f16_e32 v38, v36, v33
	v_pack_b32_f16 v37, v37, v38
	v_fma_f16 v7, v8, s6, v7
	ds_write2_b32 v25, v26, v37 offset1:36
	v_fma_f16 v26, v30, s5, v31
	v_mul_f16_e32 v8, 0xbaee, v7
	v_mul_f16_e32 v7, -0.5, v7
	v_fma_f16 v21, v27, s5, v21
	v_fma_f16 v22, v28, s6, v22
	v_fma_f16 v8, v26, -0.5, v8
	v_fma_f16 v7, v26, s5, v7
	v_sub_f16_e32 v23, v23, v32
	v_sub_f16_e32 v24, v24, v29
	v_add_f16_e32 v26, v21, v8
	v_add_f16_e32 v27, v22, v7
	v_pack_b32_f16 v26, v26, v27
	v_pack_b32_f16 v23, v23, v24
	ds_write2_b32 v25, v26, v23 offset0:72 offset1:108
	v_sub_f16_e32 v23, v34, v35
	v_sub_f16_e32 v8, v21, v8
	;; [unrolled: 1-line block ×4, first 2 shown]
	v_pack_b32_f16 v21, v23, v21
	v_pack_b32_f16 v7, v8, v7
	ds_write2_b32 v25, v21, v7 offset0:144 offset1:180
	v_mul_u32_u24_e32 v7, 3, v3
	v_lshlrev_b32_e32 v21, 2, v7
	s_waitcnt lgkmcnt(0)
	s_barrier
	global_load_dwordx3 v[23:25], v21, s[12:13] offset:840
	s_movk_i32 s5, 0x48
	v_add_u32_e32 v7, 0xffffffb8, v3
	v_cmp_gt_u32_e32 vcc, s5, v3
	v_cndmask_b32_e32 v47, v7, v19, vcc
	v_mul_i32_i24_e32 v7, 3, v47
	v_mov_b32_e32 v8, 0
	v_lshlrev_b64 v[26:27], 2, v[7:8]
	v_mov_b32_e32 v22, s13
	v_add_co_u32_e32 v32, vcc, s12, v26
	v_addc_co_u32_e32 v33, vcc, v22, v27, vcc
	global_load_dwordx3 v[26:28], v[32:33], off offset:840
	global_load_dwordx3 v[29:31], v21, s[12:13] offset:1704
	ds_read2_b32 v[41:42], v18 offset0:96 offset1:240
	v_lshrrev_b16_e32 v7, 3, v20
	v_mul_u32_u24_e32 v7, 0x12f7, v7
	v_lshrrev_b32_e32 v7, 17, v7
	v_mul_lo_u16_e32 v7, 0xd8, v7
	s_waitcnt lgkmcnt(0)
	v_lshrrev_b32_e32 v38, 16, v41
	v_sub_u16_e32 v7, v20, v7
	v_mul_u32_u24_e32 v20, 3, v7
	v_lshlrev_b32_e32 v20, 2, v20
	global_load_dwordx3 v[32:34], v20, s[12:13] offset:840
	ds_read2_b32 v[43:44], v12 offset0:64 offset1:208
	s_movk_i32 s5, 0x47
	v_cmp_lt_u32_e32 vcc, s5, v3
	v_add_u32_e32 v71, 0x680, v0
	v_lshl_add_u32 v7, v7, 2, 0
	s_waitcnt vmcnt(3)
	v_mul_f16_sdwa v39, v23, v41 dst_sel:DWORD dst_unused:UNUSED_PAD src0_sel:WORD_1 src1_sel:DWORD
	v_fma_f16 v49, v23, v38, -v39
	v_mul_f16_sdwa v45, v23, v38 dst_sel:DWORD dst_unused:UNUSED_PAD src0_sel:WORD_1 src1_sel:DWORD
	v_add_u16_e32 v38, 0x2d0, v3
	v_lshrrev_b16_e32 v39, 3, v38
	v_mul_u32_u24_e32 v39, 0x12f7, v39
	v_lshrrev_b32_e32 v39, 17, v39
	v_mul_lo_u16_e32 v39, 0xd8, v39
	v_sub_u16_e32 v50, v38, v39
	v_mul_u32_u24_e32 v38, 3, v50
	v_lshlrev_b32_e32 v38, 2, v38
	global_load_dwordx3 v[38:40], v38, s[12:13] offset:840
	v_add_u16_e32 v20, 0x240, v3
	v_lshrrev_b16_e32 v35, 3, v20
	v_mul_u32_u24_e32 v35, 0x12f7, v35
	v_lshrrev_b32_e32 v48, 17, v35
	v_mul_lo_u16_e32 v35, 0xd8, v48
	v_sub_u16_e32 v20, v20, v35
	v_mul_u32_u24_e32 v35, 3, v20
	v_lshlrev_b32_e32 v35, 2, v35
	global_load_dwordx3 v[35:37], v35, s[12:13] offset:840
	v_fma_f16 v41, v23, v41, v45
	ds_read2_b32 v[45:46], v17 offset0:32 offset1:176
	s_waitcnt lgkmcnt(1)
	v_lshrrev_b32_e32 v23, 16, v43
	v_mul_f16_sdwa v51, v24, v43 dst_sel:DWORD dst_unused:UNUSED_PAD src0_sel:WORD_1 src1_sel:DWORD
	v_fma_f16 v51, v24, v23, -v51
	v_mul_f16_sdwa v23, v24, v23 dst_sel:DWORD dst_unused:UNUSED_PAD src0_sel:WORD_1 src1_sel:DWORD
	v_fma_f16 v43, v24, v43, v23
	s_waitcnt lgkmcnt(0)
	v_lshrrev_b32_e32 v23, 16, v45
	v_mul_f16_sdwa v24, v25, v45 dst_sel:DWORD dst_unused:UNUSED_PAD src0_sel:WORD_1 src1_sel:DWORD
	v_fma_f16 v52, v25, v23, -v24
	v_mul_f16_sdwa v23, v25, v23 dst_sel:DWORD dst_unused:UNUSED_PAD src0_sel:WORD_1 src1_sel:DWORD
	v_fma_f16 v45, v25, v45, v23
	v_lshrrev_b32_e32 v23, 16, v42
	s_waitcnt vmcnt(4)
	v_mul_f16_sdwa v24, v23, v26 dst_sel:DWORD dst_unused:UNUSED_PAD src0_sel:DWORD src1_sel:WORD_1
	v_fma_f16 v53, v42, v26, v24
	v_mul_f16_sdwa v24, v42, v26 dst_sel:DWORD dst_unused:UNUSED_PAD src0_sel:DWORD src1_sel:WORD_1
	v_fma_f16 v42, v23, v26, -v24
	v_lshrrev_b32_e32 v23, 16, v44
	v_mul_f16_sdwa v24, v23, v27 dst_sel:DWORD dst_unused:UNUSED_PAD src0_sel:DWORD src1_sel:WORD_1
	v_fma_f16 v54, v44, v27, v24
	v_mul_f16_sdwa v24, v44, v27 dst_sel:DWORD dst_unused:UNUSED_PAD src0_sel:DWORD src1_sel:WORD_1
	v_fma_f16 v44, v23, v27, -v24
	ds_read2_b32 v[23:24], v9 offset1:144
	v_lshrrev_b32_e32 v25, 16, v46
	v_mul_f16_sdwa v26, v25, v28 dst_sel:DWORD dst_unused:UNUSED_PAD src0_sel:DWORD src1_sel:WORD_1
	v_fma_f16 v55, v46, v28, v26
	v_mul_f16_sdwa v26, v46, v28 dst_sel:DWORD dst_unused:UNUSED_PAD src0_sel:DWORD src1_sel:WORD_1
	v_fma_f16 v46, v25, v28, -v26
	s_waitcnt lgkmcnt(0)
	v_lshrrev_b32_e32 v27, 16, v23
	ds_read2_b32 v[25:26], v15 offset0:96 offset1:240
	s_waitcnt vmcnt(3)
	v_mul_f16_sdwa v28, v23, v29 dst_sel:DWORD dst_unused:UNUSED_PAD src0_sel:DWORD src1_sel:WORD_1
	v_fma_f16 v56, v27, v29, -v28
	v_mul_f16_sdwa v27, v27, v29 dst_sel:DWORD dst_unused:UNUSED_PAD src0_sel:DWORD src1_sel:WORD_1
	v_fma_f16 v29, v23, v29, v27
	ds_read2_b32 v[27:28], v10 offset0:64 offset1:208
	s_waitcnt lgkmcnt(1)
	v_lshrrev_b32_e32 v23, 16, v25
	v_mul_f16_sdwa v57, v25, v30 dst_sel:DWORD dst_unused:UNUSED_PAD src0_sel:DWORD src1_sel:WORD_1
	v_fma_f16 v57, v23, v30, -v57
	v_mul_f16_sdwa v23, v23, v30 dst_sel:DWORD dst_unused:UNUSED_PAD src0_sel:DWORD src1_sel:WORD_1
	v_fma_f16 v30, v25, v30, v23
	s_waitcnt lgkmcnt(0)
	v_lshrrev_b32_e32 v23, 16, v27
	v_mul_f16_sdwa v25, v27, v31 dst_sel:DWORD dst_unused:UNUSED_PAD src0_sel:DWORD src1_sel:WORD_1
	v_fma_f16 v58, v23, v31, -v25
	v_mul_f16_sdwa v23, v23, v31 dst_sel:DWORD dst_unused:UNUSED_PAD src0_sel:DWORD src1_sel:WORD_1
	v_fma_f16 v31, v27, v31, v23
	v_lshrrev_b32_e32 v23, 16, v24
	s_waitcnt vmcnt(2)
	v_mul_f16_sdwa v25, v23, v32 dst_sel:DWORD dst_unused:UNUSED_PAD src0_sel:DWORD src1_sel:WORD_1
	v_fma_f16 v59, v24, v32, v25
	v_mul_f16_sdwa v24, v24, v32 dst_sel:DWORD dst_unused:UNUSED_PAD src0_sel:DWORD src1_sel:WORD_1
	v_fma_f16 v32, v23, v32, -v24
	v_lshrrev_b32_e32 v23, 16, v26
	v_mul_f16_sdwa v24, v23, v33 dst_sel:DWORD dst_unused:UNUSED_PAD src0_sel:DWORD src1_sel:WORD_1
	v_fma_f16 v60, v26, v33, v24
	v_mul_f16_sdwa v24, v26, v33 dst_sel:DWORD dst_unused:UNUSED_PAD src0_sel:DWORD src1_sel:WORD_1
	v_fma_f16 v33, v23, v33, -v24
	ds_read2_b32 v[23:24], v14 offset0:32 offset1:176
	v_lshrrev_b32_e32 v25, 16, v28
	v_mul_f16_sdwa v26, v25, v34 dst_sel:DWORD dst_unused:UNUSED_PAD src0_sel:DWORD src1_sel:WORD_1
	v_fma_f16 v61, v28, v34, v26
	v_mul_f16_sdwa v26, v28, v34 dst_sel:DWORD dst_unused:UNUSED_PAD src0_sel:DWORD src1_sel:WORD_1
	v_fma_f16 v34, v25, v34, -v26
	s_waitcnt lgkmcnt(0)
	v_lshrrev_b32_e32 v27, 16, v23
	ds_read2_b32 v[25:26], v4 offset1:144
	v_sub_f16_e32 v46, v42, v46
	v_fma_f16 v42, v42, 2.0, -v46
	v_sub_f16_e32 v31, v29, v31
	v_fma_f16 v29, v29, 2.0, -v31
	v_lshlrev_b32_e32 v20, 2, v20
	s_waitcnt vmcnt(0)
	v_mul_f16_sdwa v28, v23, v35 dst_sel:DWORD dst_unused:UNUSED_PAD src0_sel:DWORD src1_sel:WORD_1
	v_fma_f16 v62, v27, v35, -v28
	v_mul_f16_sdwa v27, v27, v35 dst_sel:DWORD dst_unused:UNUSED_PAD src0_sel:DWORD src1_sel:WORD_1
	v_fma_f16 v35, v23, v35, v27
	ds_read2_b32 v[27:28], v13 offset0:96 offset1:240
	s_waitcnt lgkmcnt(1)
	v_lshrrev_b32_e32 v23, 16, v25
	v_mul_f16_sdwa v63, v25, v36 dst_sel:DWORD dst_unused:UNUSED_PAD src0_sel:DWORD src1_sel:WORD_1
	v_fma_f16 v63, v23, v36, -v63
	v_mul_f16_sdwa v23, v23, v36 dst_sel:DWORD dst_unused:UNUSED_PAD src0_sel:DWORD src1_sel:WORD_1
	v_fma_f16 v36, v25, v36, v23
	s_waitcnt lgkmcnt(0)
	v_lshrrev_b32_e32 v23, 16, v27
	v_mul_f16_sdwa v25, v27, v37 dst_sel:DWORD dst_unused:UNUSED_PAD src0_sel:DWORD src1_sel:WORD_1
	v_fma_f16 v64, v23, v37, -v25
	v_mul_f16_sdwa v23, v23, v37 dst_sel:DWORD dst_unused:UNUSED_PAD src0_sel:DWORD src1_sel:WORD_1
	v_fma_f16 v37, v27, v37, v23
	v_lshrrev_b32_e32 v23, 16, v24
	v_mul_f16_sdwa v25, v23, v38 dst_sel:DWORD dst_unused:UNUSED_PAD src0_sel:DWORD src1_sel:WORD_1
	v_fma_f16 v65, v24, v38, v25
	v_mul_f16_sdwa v24, v24, v38 dst_sel:DWORD dst_unused:UNUSED_PAD src0_sel:DWORD src1_sel:WORD_1
	v_fma_f16 v38, v23, v38, -v24
	v_lshrrev_b32_e32 v23, 16, v26
	v_mul_f16_sdwa v24, v23, v39 dst_sel:DWORD dst_unused:UNUSED_PAD src0_sel:DWORD src1_sel:WORD_1
	v_fma_f16 v66, v26, v39, v24
	v_mul_f16_sdwa v24, v26, v39 dst_sel:DWORD dst_unused:UNUSED_PAD src0_sel:DWORD src1_sel:WORD_1
	v_fma_f16 v39, v23, v39, -v24
	ds_read2_b32 v[23:24], v0 offset1:144
	v_lshrrev_b32_e32 v25, 16, v28
	v_mul_f16_sdwa v26, v25, v40 dst_sel:DWORD dst_unused:UNUSED_PAD src0_sel:DWORD src1_sel:WORD_1
	v_fma_f16 v67, v28, v40, v26
	v_mul_f16_sdwa v26, v28, v40 dst_sel:DWORD dst_unused:UNUSED_PAD src0_sel:DWORD src1_sel:WORD_1
	v_fma_f16 v40, v25, v40, -v26
	s_waitcnt lgkmcnt(0)
	v_lshrrev_b32_e32 v25, 16, v23
	v_sub_f16_e32 v51, v25, v51
	v_sub_f16_e32 v43, v23, v43
	v_fma_f16 v68, v25, 2.0, -v51
	v_sub_f16_e32 v25, v41, v45
	v_sub_f16_e32 v26, v49, v52
	v_fma_f16 v27, v41, 2.0, -v25
	v_fma_f16 v28, v49, 2.0, -v26
	;; [unrolled: 1-line block ×3, first 2 shown]
	v_sub_f16_e32 v41, v23, v27
	v_sub_f16_e32 v45, v68, v28
	v_add_f16_e32 v49, v43, v26
	v_sub_f16_e32 v52, v51, v25
	v_pack_b32_f16 v69, v41, v45
	v_fma_f16 v23, v23, 2.0, -v41
	v_fma_f16 v41, v68, 2.0, -v45
	;; [unrolled: 1-line block ×4, first 2 shown]
	v_pack_b32_f16 v23, v23, v41
	v_pack_b32_f16 v41, v43, v45
	v_mov_b32_e32 v43, 0xd80
	ds_read2_b32 v[25:26], v16 offset0:32 offset1:176
	ds_read2_b32 v[27:28], v11 offset0:64 offset1:208
	s_waitcnt lgkmcnt(0)
	s_barrier
	ds_write2_b32 v0, v23, v41 offset1:216
	v_lshrrev_b32_e32 v41, 16, v24
	v_cndmask_b32_e32 v43, 0, v43, vcc
	v_lshlrev_b32_e32 v45, 2, v47
	v_sub_f16_e32 v23, v24, v54
	v_add3_u32 v43, 0, v43, v45
	v_sub_f16_e32 v44, v41, v44
	v_sub_f16_e32 v45, v53, v55
	v_fma_f16 v24, v24, 2.0, -v23
	v_fma_f16 v41, v41, 2.0, -v44
	;; [unrolled: 1-line block ×3, first 2 shown]
	v_sub_f16_e32 v47, v24, v47
	v_sub_f16_e32 v42, v41, v42
	v_fma_f16 v24, v24, 2.0, -v47
	v_fma_f16 v41, v41, 2.0, -v42
	v_pack_b32_f16 v24, v24, v41
	v_add_f16_e32 v41, v23, v46
	v_sub_f16_e32 v45, v44, v45
	v_fma_f16 v23, v23, 2.0, -v41
	v_fma_f16 v44, v44, 2.0, -v45
	v_pack_b32_f16 v70, v49, v52
	v_pack_b32_f16 v23, v23, v44
	ds_write2_b32 v71, v69, v70 offset0:16 offset1:232
	ds_write2_b32 v43, v24, v23 offset1:216
	v_pack_b32_f16 v23, v47, v42
	v_pack_b32_f16 v24, v41, v45
	v_add_u32_e32 v41, 0x680, v43
	ds_write2_b32 v41, v23, v24 offset0:16 offset1:232
	v_lshrrev_b32_e32 v24, 16, v25
	v_sub_f16_e32 v23, v25, v30
	v_sub_f16_e32 v30, v24, v57
	;; [unrolled: 1-line block ×3, first 2 shown]
	v_fma_f16 v24, v24, 2.0, -v30
	v_fma_f16 v42, v56, 2.0, -v41
	v_fma_f16 v25, v25, 2.0, -v23
	v_sub_f16_e32 v29, v25, v29
	v_sub_f16_e32 v42, v24, v42
	v_fma_f16 v25, v25, 2.0, -v29
	v_fma_f16 v24, v24, 2.0, -v42
	v_pack_b32_f16 v24, v25, v24
	v_add_f16_e32 v25, v23, v41
	v_sub_f16_e32 v31, v30, v31
	v_fma_f16 v23, v23, 2.0, -v25
	v_fma_f16 v30, v30, 2.0, -v31
	v_pack_b32_f16 v23, v23, v30
	v_add_u32_e32 v30, 0xe80, v0
	ds_write2_b32 v30, v24, v23 offset0:8 offset1:224
	v_pack_b32_f16 v23, v29, v42
	v_pack_b32_f16 v24, v25, v31
	v_add_u32_e32 v25, 0x1500, v0
	ds_write2_b32 v25, v23, v24 offset0:24 offset1:240
	v_sub_f16_e32 v23, v26, v60
	v_lshrrev_b32_e32 v24, 16, v26
	v_fma_f16 v25, v26, 2.0, -v23
	v_sub_f16_e32 v26, v24, v33
	v_sub_f16_e32 v29, v59, v61
	;; [unrolled: 1-line block ×3, first 2 shown]
	v_fma_f16 v24, v24, 2.0, -v26
	v_fma_f16 v31, v59, 2.0, -v29
	;; [unrolled: 1-line block ×3, first 2 shown]
	v_sub_f16_e32 v31, v25, v31
	v_sub_f16_e32 v32, v24, v32
	v_fma_f16 v25, v25, 2.0, -v31
	v_fma_f16 v24, v24, 2.0, -v32
	v_pack_b32_f16 v24, v25, v24
	v_add_f16_e32 v25, v23, v30
	v_sub_f16_e32 v29, v26, v29
	v_fma_f16 v23, v23, 2.0, -v25
	v_fma_f16 v26, v26, 2.0, -v29
	v_pack_b32_f16 v23, v23, v26
	v_add_u32_e32 v26, 0x1b00, v7
	ds_write2_b32 v26, v24, v23 offset1:216
	v_pack_b32_f16 v23, v31, v32
	v_pack_b32_f16 v24, v25, v29
	v_add_u32_e32 v7, 0x2180, v7
	ds_write2_b32 v7, v23, v24 offset0:16 offset1:232
	v_mul_u32_u24_e32 v7, 0xd80, v48
	v_lshrrev_b32_e32 v23, 16, v27
	v_add3_u32 v7, 0, v7, v20
	v_sub_f16_e32 v20, v27, v36
	v_sub_f16_e32 v24, v23, v63
	;; [unrolled: 1-line block ×4, first 2 shown]
	v_fma_f16 v23, v23, 2.0, -v24
	v_fma_f16 v29, v35, 2.0, -v25
	;; [unrolled: 1-line block ×4, first 2 shown]
	v_sub_f16_e32 v29, v27, v29
	v_sub_f16_e32 v30, v23, v30
	v_add_f16_e32 v26, v20, v26
	v_sub_f16_e32 v25, v24, v25
	v_fma_f16 v27, v27, 2.0, -v29
	v_fma_f16 v23, v23, 2.0, -v30
	;; [unrolled: 1-line block ×4, first 2 shown]
	v_pack_b32_f16 v23, v27, v23
	v_pack_b32_f16 v20, v20, v24
	ds_write2_b32 v7, v23, v20 offset1:216
	v_pack_b32_f16 v20, v29, v30
	v_pack_b32_f16 v23, v26, v25
	v_add_u32_e32 v7, 0x680, v7
	ds_write2_b32 v7, v20, v23 offset0:16 offset1:232
	v_lshrrev_b32_e32 v20, 16, v28
	v_sub_f16_e32 v7, v28, v66
	v_sub_f16_e32 v24, v20, v39
	;; [unrolled: 1-line block ×4, first 2 shown]
	v_fma_f16 v23, v28, 2.0, -v7
	v_fma_f16 v20, v20, 2.0, -v24
	v_fma_f16 v27, v65, 2.0, -v25
	v_fma_f16 v28, v38, 2.0, -v26
	v_sub_f16_e32 v27, v23, v27
	v_sub_f16_e32 v28, v20, v28
	v_fma_f16 v23, v23, 2.0, -v27
	v_fma_f16 v20, v20, 2.0, -v28
	v_pack_b32_f16 v20, v23, v20
	v_add_f16_e32 v23, v7, v26
	v_sub_f16_e32 v25, v24, v25
	v_fma_f16 v7, v7, 2.0, -v23
	v_fma_f16 v24, v24, 2.0, -v25
	v_pack_b32_f16 v7, v7, v24
	v_lshl_add_u32 v24, v50, 2, 0
	v_add_u32_e32 v26, 0x2800, v24
	ds_write2_b32 v26, v20, v7 offset0:32 offset1:248
	v_pack_b32_f16 v7, v27, v28
	v_pack_b32_f16 v20, v23, v25
	v_add_u32_e32 v23, 0x2f00, v24
	ds_write2_b32 v23, v7, v20 offset0:16 offset1:232
	s_waitcnt lgkmcnt(0)
	s_barrier
	global_load_dwordx3 v[23:25], v21, s[12:13] offset:3432
	v_mul_u32_u24_e32 v7, 3, v19
	v_lshlrev_b32_e32 v7, 2, v7
	global_load_dwordx3 v[19:21], v7, s[12:13] offset:3432
	v_add_co_u32_e32 v26, vcc, s12, v7
	v_addc_co_u32_e32 v22, vcc, 0, v22, vcc
	v_add_co_u32_e32 v32, vcc, s4, v26
	v_addc_co_u32_e32 v33, vcc, 0, v22, vcc
	global_load_dwordx3 v[26:28], v[32:33], off offset:1064
	global_load_dwordx3 v[29:31], v[32:33], off offset:2792
	v_add_u32_e32 v22, 0x1440, v7
	global_load_dwordx3 v[32:34], v22, s[12:13] offset:3432
	ds_read2_b32 v[38:39], v18 offset0:96 offset1:240
	v_add_u32_e32 v7, 0x1b00, v7
	ds_read2_b32 v[40:41], v12 offset0:64 offset1:208
	s_waitcnt lgkmcnt(1)
	v_lshrrev_b32_e32 v22, 16, v38
	s_waitcnt vmcnt(4)
	v_mul_f16_sdwa v35, v23, v38 dst_sel:DWORD dst_unused:UNUSED_PAD src0_sel:WORD_1 src1_sel:DWORD
	v_fma_f16 v42, v23, v22, -v35
	global_load_dwordx3 v[35:37], v7, s[12:13] offset:3432
	v_mul_f16_sdwa v22, v23, v22 dst_sel:DWORD dst_unused:UNUSED_PAD src0_sel:WORD_1 src1_sel:DWORD
	v_fma_f16 v7, v23, v38, v22
	ds_read2_b32 v[22:23], v17 offset0:32 offset1:176
	s_waitcnt lgkmcnt(1)
	v_lshrrev_b32_e32 v38, 16, v40
	v_mul_f16_sdwa v43, v24, v40 dst_sel:DWORD dst_unused:UNUSED_PAD src0_sel:WORD_1 src1_sel:DWORD
	v_fma_f16 v43, v24, v38, -v43
	v_mul_f16_sdwa v38, v24, v38 dst_sel:DWORD dst_unused:UNUSED_PAD src0_sel:WORD_1 src1_sel:DWORD
	v_fma_f16 v38, v24, v40, v38
	s_waitcnt lgkmcnt(0)
	v_lshrrev_b32_e32 v24, 16, v22
	v_mul_f16_sdwa v40, v25, v22 dst_sel:DWORD dst_unused:UNUSED_PAD src0_sel:WORD_1 src1_sel:DWORD
	v_fma_f16 v40, v25, v24, -v40
	v_mul_f16_sdwa v24, v25, v24 dst_sel:DWORD dst_unused:UNUSED_PAD src0_sel:WORD_1 src1_sel:DWORD
	v_fma_f16 v25, v25, v22, v24
	v_lshrrev_b32_e32 v22, 16, v39
	s_waitcnt vmcnt(4)
	v_mul_f16_sdwa v24, v22, v19 dst_sel:DWORD dst_unused:UNUSED_PAD src0_sel:DWORD src1_sel:WORD_1
	v_fma_f16 v44, v39, v19, v24
	v_mul_f16_sdwa v24, v39, v19 dst_sel:DWORD dst_unused:UNUSED_PAD src0_sel:DWORD src1_sel:WORD_1
	v_fma_f16 v39, v22, v19, -v24
	v_lshrrev_b32_e32 v19, 16, v41
	v_mul_f16_sdwa v22, v19, v20 dst_sel:DWORD dst_unused:UNUSED_PAD src0_sel:DWORD src1_sel:WORD_1
	v_fma_f16 v45, v41, v20, v22
	v_mul_f16_sdwa v22, v41, v20 dst_sel:DWORD dst_unused:UNUSED_PAD src0_sel:DWORD src1_sel:WORD_1
	v_fma_f16 v41, v19, v20, -v22
	ds_read2_b32 v[19:20], v9 offset1:144
	v_lshrrev_b32_e32 v22, 16, v23
	v_mul_f16_sdwa v24, v22, v21 dst_sel:DWORD dst_unused:UNUSED_PAD src0_sel:DWORD src1_sel:WORD_1
	v_fma_f16 v46, v23, v21, v24
	v_mul_f16_sdwa v23, v23, v21 dst_sel:DWORD dst_unused:UNUSED_PAD src0_sel:DWORD src1_sel:WORD_1
	v_fma_f16 v47, v22, v21, -v23
	s_waitcnt lgkmcnt(0)
	v_lshrrev_b32_e32 v23, 16, v19
	ds_read2_b32 v[21:22], v15 offset0:96 offset1:240
	s_waitcnt vmcnt(3)
	v_mul_f16_sdwa v24, v19, v26 dst_sel:DWORD dst_unused:UNUSED_PAD src0_sel:DWORD src1_sel:WORD_1
	v_fma_f16 v48, v23, v26, -v24
	v_mul_f16_sdwa v23, v23, v26 dst_sel:DWORD dst_unused:UNUSED_PAD src0_sel:DWORD src1_sel:WORD_1
	v_fma_f16 v26, v19, v26, v23
	ds_read2_b32 v[23:24], v10 offset0:64 offset1:208
	s_waitcnt lgkmcnt(1)
	v_lshrrev_b32_e32 v19, 16, v21
	v_mul_f16_sdwa v49, v21, v27 dst_sel:DWORD dst_unused:UNUSED_PAD src0_sel:DWORD src1_sel:WORD_1
	v_fma_f16 v49, v19, v27, -v49
	v_mul_f16_sdwa v19, v19, v27 dst_sel:DWORD dst_unused:UNUSED_PAD src0_sel:DWORD src1_sel:WORD_1
	v_fma_f16 v27, v21, v27, v19
	s_waitcnt lgkmcnt(0)
	v_lshrrev_b32_e32 v19, 16, v23
	v_mul_f16_sdwa v21, v23, v28 dst_sel:DWORD dst_unused:UNUSED_PAD src0_sel:DWORD src1_sel:WORD_1
	v_fma_f16 v50, v19, v28, -v21
	v_mul_f16_sdwa v19, v19, v28 dst_sel:DWORD dst_unused:UNUSED_PAD src0_sel:DWORD src1_sel:WORD_1
	v_fma_f16 v28, v23, v28, v19
	v_lshrrev_b32_e32 v19, 16, v20
	s_waitcnt vmcnt(2)
	v_mul_f16_sdwa v21, v19, v29 dst_sel:DWORD dst_unused:UNUSED_PAD src0_sel:DWORD src1_sel:WORD_1
	v_fma_f16 v51, v20, v29, v21
	v_mul_f16_sdwa v20, v20, v29 dst_sel:DWORD dst_unused:UNUSED_PAD src0_sel:DWORD src1_sel:WORD_1
	v_fma_f16 v29, v19, v29, -v20
	v_lshrrev_b32_e32 v19, 16, v22
	v_mul_f16_sdwa v20, v19, v30 dst_sel:DWORD dst_unused:UNUSED_PAD src0_sel:DWORD src1_sel:WORD_1
	v_fma_f16 v52, v22, v30, v20
	v_mul_f16_sdwa v20, v22, v30 dst_sel:DWORD dst_unused:UNUSED_PAD src0_sel:DWORD src1_sel:WORD_1
	v_fma_f16 v30, v19, v30, -v20
	ds_read2_b32 v[19:20], v14 offset0:32 offset1:176
	v_lshrrev_b32_e32 v21, 16, v24
	v_mul_f16_sdwa v22, v21, v31 dst_sel:DWORD dst_unused:UNUSED_PAD src0_sel:DWORD src1_sel:WORD_1
	v_fma_f16 v53, v24, v31, v22
	v_mul_f16_sdwa v22, v24, v31 dst_sel:DWORD dst_unused:UNUSED_PAD src0_sel:DWORD src1_sel:WORD_1
	v_fma_f16 v31, v21, v31, -v22
	s_waitcnt lgkmcnt(0)
	v_lshrrev_b32_e32 v23, 16, v19
	ds_read2_b32 v[21:22], v4 offset1:144
	s_waitcnt vmcnt(1)
	v_mul_f16_sdwa v24, v19, v32 dst_sel:DWORD dst_unused:UNUSED_PAD src0_sel:DWORD src1_sel:WORD_1
	v_fma_f16 v54, v23, v32, -v24
	v_mul_f16_sdwa v23, v23, v32 dst_sel:DWORD dst_unused:UNUSED_PAD src0_sel:DWORD src1_sel:WORD_1
	v_fma_f16 v32, v19, v32, v23
	ds_read2_b32 v[23:24], v13 offset0:96 offset1:240
	s_waitcnt lgkmcnt(1)
	v_lshrrev_b32_e32 v19, 16, v21
	v_mul_f16_sdwa v55, v21, v33 dst_sel:DWORD dst_unused:UNUSED_PAD src0_sel:DWORD src1_sel:WORD_1
	v_fma_f16 v55, v19, v33, -v55
	v_mul_f16_sdwa v19, v19, v33 dst_sel:DWORD dst_unused:UNUSED_PAD src0_sel:DWORD src1_sel:WORD_1
	v_fma_f16 v33, v21, v33, v19
	s_waitcnt lgkmcnt(0)
	v_lshrrev_b32_e32 v19, 16, v23
	v_mul_f16_sdwa v21, v23, v34 dst_sel:DWORD dst_unused:UNUSED_PAD src0_sel:DWORD src1_sel:WORD_1
	v_fma_f16 v56, v19, v34, -v21
	v_mul_f16_sdwa v19, v19, v34 dst_sel:DWORD dst_unused:UNUSED_PAD src0_sel:DWORD src1_sel:WORD_1
	v_fma_f16 v23, v23, v34, v19
	v_lshrrev_b32_e32 v19, 16, v20
	s_waitcnt vmcnt(0)
	v_mul_f16_sdwa v21, v19, v35 dst_sel:DWORD dst_unused:UNUSED_PAD src0_sel:DWORD src1_sel:WORD_1
	v_fma_f16 v34, v20, v35, v21
	v_mul_f16_sdwa v20, v20, v35 dst_sel:DWORD dst_unused:UNUSED_PAD src0_sel:DWORD src1_sel:WORD_1
	v_fma_f16 v35, v19, v35, -v20
	v_lshrrev_b32_e32 v19, 16, v22
	v_mul_f16_sdwa v20, v19, v36 dst_sel:DWORD dst_unused:UNUSED_PAD src0_sel:DWORD src1_sel:WORD_1
	v_fma_f16 v57, v22, v36, v20
	v_mul_f16_sdwa v20, v22, v36 dst_sel:DWORD dst_unused:UNUSED_PAD src0_sel:DWORD src1_sel:WORD_1
	v_fma_f16 v36, v19, v36, -v20
	ds_read2_b32 v[19:20], v0 offset1:144
	v_lshrrev_b32_e32 v21, 16, v24
	v_mul_f16_sdwa v22, v21, v37 dst_sel:DWORD dst_unused:UNUSED_PAD src0_sel:DWORD src1_sel:WORD_1
	v_fma_f16 v58, v24, v37, v22
	v_mul_f16_sdwa v22, v24, v37 dst_sel:DWORD dst_unused:UNUSED_PAD src0_sel:DWORD src1_sel:WORD_1
	v_fma_f16 v24, v21, v37, -v22
	s_waitcnt lgkmcnt(0)
	v_lshrrev_b32_e32 v21, 16, v19
	v_sub_f16_e32 v37, v19, v38
	v_sub_f16_e32 v43, v21, v43
	;; [unrolled: 1-line block ×4, first 2 shown]
	v_fma_f16 v19, v19, 2.0, -v37
	v_fma_f16 v21, v21, 2.0, -v43
	;; [unrolled: 1-line block ×4, first 2 shown]
	v_lshrrev_b32_e32 v22, 16, v20
	v_sub_f16_e32 v7, v19, v7
	v_sub_f16_e32 v42, v21, v42
	;; [unrolled: 1-line block ×3, first 2 shown]
	v_fma_f16 v19, v19, 2.0, -v7
	v_fma_f16 v21, v21, 2.0, -v42
	v_sub_f16_e32 v41, v22, v41
	v_sub_f16_e32 v46, v44, v46
	v_sub_f16_e32 v47, v39, v47
	v_fma_f16 v20, v20, 2.0, -v38
	v_pack_b32_f16 v45, v19, v21
	v_fma_f16 v19, v22, 2.0, -v41
	v_fma_f16 v21, v44, 2.0, -v46
	;; [unrolled: 1-line block ×3, first 2 shown]
	v_sub_f16_e32 v39, v20, v21
	v_sub_f16_e32 v44, v19, v22
	v_fma_f16 v20, v20, 2.0, -v39
	v_fma_f16 v19, v19, 2.0, -v44
	v_pack_b32_f16 v59, v20, v19
	ds_read2_b32 v[19:20], v16 offset0:32 offset1:176
	ds_read2_b32 v[21:22], v11 offset0:64 offset1:208
	s_waitcnt lgkmcnt(0)
	s_barrier
	ds_write2_b32 v0, v45, v59 offset1:144
	v_add_f16_e32 v0, v37, v40
	v_sub_f16_e32 v25, v43, v25
	v_fma_f16 v37, v37, 2.0, -v0
	v_fma_f16 v40, v43, 2.0, -v25
	v_pack_b32_f16 v37, v37, v40
	v_add_f16_e32 v40, v38, v47
	v_sub_f16_e32 v43, v41, v46
	v_fma_f16 v38, v38, 2.0, -v40
	v_fma_f16 v41, v41, 2.0, -v43
	v_pack_b32_f16 v38, v38, v41
	ds_write2_b32 v18, v37, v38 offset0:96 offset1:240
	v_pack_b32_f16 v7, v7, v42
	v_pack_b32_f16 v18, v39, v44
	ds_write2_b32 v12, v7, v18 offset0:64 offset1:208
	v_pack_b32_f16 v0, v0, v25
	v_pack_b32_f16 v7, v40, v43
	ds_write2_b32 v17, v0, v7 offset0:32 offset1:176
	v_sub_f16_e32 v0, v19, v27
	v_sub_f16_e32 v7, v20, v52
	v_lshrrev_b32_e32 v12, 16, v19
	v_lshrrev_b32_e32 v17, 16, v20
	v_fma_f16 v18, v19, 2.0, -v0
	v_fma_f16 v19, v20, 2.0, -v7
	v_sub_f16_e32 v20, v12, v49
	v_sub_f16_e32 v25, v26, v28
	;; [unrolled: 1-line block ×3, first 2 shown]
	v_fma_f16 v12, v12, 2.0, -v20
	v_fma_f16 v26, v26, 2.0, -v25
	;; [unrolled: 1-line block ×3, first 2 shown]
	v_sub_f16_e32 v26, v18, v26
	v_sub_f16_e32 v28, v12, v28
	v_fma_f16 v18, v18, 2.0, -v26
	v_fma_f16 v12, v12, 2.0, -v28
	v_pack_b32_f16 v12, v18, v12
	v_sub_f16_e32 v18, v17, v30
	v_sub_f16_e32 v30, v51, v53
	;; [unrolled: 1-line block ×3, first 2 shown]
	v_fma_f16 v17, v17, 2.0, -v18
	v_fma_f16 v37, v51, 2.0, -v30
	;; [unrolled: 1-line block ×3, first 2 shown]
	v_sub_f16_e32 v37, v19, v37
	v_sub_f16_e32 v29, v17, v29
	v_fma_f16 v19, v19, 2.0, -v37
	v_fma_f16 v17, v17, 2.0, -v29
	v_pack_b32_f16 v17, v19, v17
	ds_write2_b32 v16, v12, v17 offset0:32 offset1:176
	v_add_f16_e32 v12, v0, v27
	v_sub_f16_e32 v16, v20, v25
	v_fma_f16 v0, v0, 2.0, -v12
	v_fma_f16 v17, v20, 2.0, -v16
	v_pack_b32_f16 v0, v0, v17
	v_add_f16_e32 v17, v7, v31
	v_sub_f16_e32 v19, v18, v30
	v_fma_f16 v7, v7, 2.0, -v17
	v_fma_f16 v18, v18, 2.0, -v19
	v_pack_b32_f16 v7, v7, v18
	ds_write2_b32 v9, v0, v7 offset1:144
	v_pack_b32_f16 v0, v26, v28
	v_pack_b32_f16 v7, v37, v29
	ds_write2_b32 v15, v0, v7 offset0:96 offset1:240
	v_pack_b32_f16 v0, v12, v16
	v_pack_b32_f16 v7, v17, v19
	v_lshrrev_b32_e32 v9, 16, v21
	ds_write2_b32 v10, v0, v7 offset0:64 offset1:208
	v_sub_f16_e32 v0, v21, v33
	v_sub_f16_e32 v16, v9, v55
	;; [unrolled: 1-line block ×4, first 2 shown]
	v_fma_f16 v12, v21, 2.0, -v0
	v_fma_f16 v9, v9, 2.0, -v16
	;; [unrolled: 1-line block ×4, first 2 shown]
	v_sub_f16_e32 v19, v12, v19
	v_sub_f16_e32 v20, v9, v20
	v_fma_f16 v12, v12, 2.0, -v19
	v_fma_f16 v9, v9, 2.0, -v20
	v_pack_b32_f16 v9, v12, v9
	v_add_f16_e32 v12, v0, v18
	v_sub_f16_e32 v17, v16, v17
	v_lshrrev_b32_e32 v10, 16, v22
	v_fma_f16 v0, v0, 2.0, -v12
	v_fma_f16 v16, v16, 2.0, -v17
	v_sub_f16_e32 v7, v22, v57
	v_pack_b32_f16 v0, v0, v16
	v_pack_b32_f16 v16, v19, v20
	v_pack_b32_f16 v12, v12, v17
	v_sub_f16_e32 v17, v10, v36
	v_sub_f16_e32 v18, v34, v58
	;; [unrolled: 1-line block ×3, first 2 shown]
	v_fma_f16 v20, v34, 2.0, -v18
	v_fma_f16 v21, v35, 2.0, -v19
	v_add_f16_e32 v19, v7, v19
	v_sub_f16_e32 v18, v17, v18
	v_fma_f16 v15, v22, 2.0, -v7
	v_fma_f16 v10, v10, 2.0, -v17
	;; [unrolled: 1-line block ×4, first 2 shown]
	v_sub_f16_e32 v20, v15, v20
	v_sub_f16_e32 v21, v10, v21
	v_pack_b32_f16 v7, v7, v17
	v_fma_f16 v15, v15, 2.0, -v20
	v_fma_f16 v10, v10, 2.0, -v21
	ds_write2_b32 v14, v0, v7 offset0:32 offset1:176
	v_pack_b32_f16 v0, v20, v21
	v_pack_b32_f16 v10, v15, v10
	ds_write2_b32 v4, v16, v0 offset1:144
	v_pack_b32_f16 v0, v19, v18
	ds_write2_b32 v11, v9, v10 offset0:64 offset1:208
	ds_write2_b32 v13, v12, v0 offset0:96 offset1:240
	s_waitcnt lgkmcnt(0)
	s_barrier
	s_and_saveexec_b64 s[4:5], s[0:1]
	s_cbranch_execz .LBB0_21
; %bb.20:
	v_mul_lo_u32 v0, s3, v5
	v_mul_lo_u32 v4, s2, v6
	v_mad_u64_u32 v[5:6], s[0:1], s2, v5, 0
	v_lshl_add_u32 v11, v3, 2, 0
	ds_read2_b32 v[9:10], v11 offset1:144
	v_add3_u32 v6, v6, v4, v0
	v_lshlrev_b64 v[5:6], 2, v[5:6]
	v_mov_b32_e32 v0, s11
	v_add_co_u32_e32 v5, vcc, s10, v5
	v_addc_co_u32_e32 v6, vcc, v0, v6, vcc
	v_lshlrev_b64 v[0:1], 2, v[1:2]
	v_mov_b32_e32 v4, v8
	v_add_co_u32_e32 v12, vcc, v5, v0
	v_addc_co_u32_e32 v6, vcc, v6, v1, vcc
	v_lshlrev_b64 v[0:1], 2, v[3:4]
	v_add_u32_e32 v7, 0x90, v3
	v_add_co_u32_e32 v0, vcc, v12, v0
	v_addc_co_u32_e32 v1, vcc, v6, v1, vcc
	s_waitcnt lgkmcnt(0)
	global_store_dword v[0:1], v9, off
	v_lshlrev_b64 v[0:1], 2, v[7:8]
	v_add_u32_e32 v7, 0x120, v3
	v_add_co_u32_e32 v0, vcc, v12, v0
	v_addc_co_u32_e32 v1, vcc, v6, v1, vcc
	global_store_dword v[0:1], v10, off
	v_add_u32_e32 v0, 0x400, v11
	ds_read2_b32 v[0:1], v0 offset0:32 offset1:176
	v_lshlrev_b64 v[4:5], 2, v[7:8]
	v_add_u32_e32 v7, 0x1b0, v3
	v_add_co_u32_e32 v4, vcc, v12, v4
	v_addc_co_u32_e32 v5, vcc, v6, v5, vcc
	s_waitcnt lgkmcnt(0)
	global_store_dword v[4:5], v0, off
	v_lshlrev_b64 v[4:5], 2, v[7:8]
	v_add_u32_e32 v0, 0x800, v11
	v_add_co_u32_e32 v4, vcc, v12, v4
	v_addc_co_u32_e32 v5, vcc, v6, v5, vcc
	global_store_dword v[4:5], v1, off
	v_add_u32_e32 v7, 0x240, v3
	ds_read2_b32 v[0:1], v0 offset0:64 offset1:208
	;; [unrolled: 13-line block ×3, first 2 shown]
	v_lshlrev_b64 v[4:5], 2, v[7:8]
	v_add_u32_e32 v7, 0x3f0, v3
	v_add_co_u32_e32 v4, vcc, v12, v4
	v_addc_co_u32_e32 v5, vcc, v6, v5, vcc
	s_waitcnt lgkmcnt(0)
	global_store_dword v[4:5], v0, off
	v_lshlrev_b64 v[4:5], 2, v[7:8]
	v_add_u32_e32 v0, 0x1200, v11
	v_add_co_u32_e32 v4, vcc, v12, v4
	v_addc_co_u32_e32 v5, vcc, v6, v5, vcc
	global_store_dword v[4:5], v1, off
	v_add_u32_e32 v7, 0x480, v3
	ds_read2_b32 v[0:1], v0 offset1:144
	v_lshlrev_b64 v[4:5], 2, v[7:8]
	v_add_u32_e32 v7, 0x510, v3
	v_add_co_u32_e32 v4, vcc, v12, v4
	v_addc_co_u32_e32 v5, vcc, v6, v5, vcc
	s_waitcnt lgkmcnt(0)
	global_store_dword v[4:5], v0, off
	v_lshlrev_b64 v[4:5], 2, v[7:8]
	v_add_u32_e32 v0, 0x1600, v11
	v_add_co_u32_e32 v4, vcc, v12, v4
	v_addc_co_u32_e32 v5, vcc, v6, v5, vcc
	global_store_dword v[4:5], v1, off
	v_add_u32_e32 v7, 0x5a0, v3
	ds_read2_b32 v[0:1], v0 offset0:32 offset1:176
	v_lshlrev_b64 v[4:5], 2, v[7:8]
	v_add_u32_e32 v7, 0x630, v3
	v_add_co_u32_e32 v4, vcc, v12, v4
	v_addc_co_u32_e32 v5, vcc, v6, v5, vcc
	s_waitcnt lgkmcnt(0)
	global_store_dword v[4:5], v0, off
	v_lshlrev_b64 v[4:5], 2, v[7:8]
	v_add_u32_e32 v0, 0x1a00, v11
	v_add_co_u32_e32 v4, vcc, v12, v4
	v_addc_co_u32_e32 v5, vcc, v6, v5, vcc
	global_store_dword v[4:5], v1, off
	v_add_u32_e32 v7, 0x6c0, v3
	ds_read2_b32 v[0:1], v0 offset0:64 offset1:208
	;; [unrolled: 13-line block ×3, first 2 shown]
	v_lshlrev_b64 v[4:5], 2, v[7:8]
	v_add_u32_e32 v7, 0x870, v3
	v_add_co_u32_e32 v4, vcc, v12, v4
	v_addc_co_u32_e32 v5, vcc, v6, v5, vcc
	s_waitcnt lgkmcnt(0)
	global_store_dword v[4:5], v0, off
	v_lshlrev_b64 v[4:5], 2, v[7:8]
	v_add_u32_e32 v0, 0x2400, v11
	v_add_co_u32_e32 v4, vcc, v12, v4
	v_addc_co_u32_e32 v5, vcc, v6, v5, vcc
	global_store_dword v[4:5], v1, off
	v_add_u32_e32 v7, 0x900, v3
	ds_read2_b32 v[0:1], v0 offset1:144
	v_lshlrev_b64 v[4:5], 2, v[7:8]
	v_add_u32_e32 v7, 0x990, v3
	v_add_co_u32_e32 v4, vcc, v12, v4
	v_addc_co_u32_e32 v5, vcc, v6, v5, vcc
	s_waitcnt lgkmcnt(0)
	global_store_dword v[4:5], v0, off
	v_lshlrev_b64 v[4:5], 2, v[7:8]
	v_add_u32_e32 v0, 0x2800, v11
	v_add_co_u32_e32 v4, vcc, v12, v4
	v_addc_co_u32_e32 v5, vcc, v6, v5, vcc
	global_store_dword v[4:5], v1, off
	v_add_u32_e32 v7, 0xa20, v3
	ds_read2_b32 v[0:1], v0 offset0:32 offset1:176
	v_lshlrev_b64 v[4:5], 2, v[7:8]
	v_add_u32_e32 v7, 0xab0, v3
	v_add_co_u32_e32 v4, vcc, v12, v4
	v_addc_co_u32_e32 v5, vcc, v6, v5, vcc
	s_waitcnt lgkmcnt(0)
	global_store_dword v[4:5], v0, off
	v_lshlrev_b64 v[4:5], 2, v[7:8]
	v_add_u32_e32 v0, 0x2c00, v11
	v_add_co_u32_e32 v4, vcc, v12, v4
	v_addc_co_u32_e32 v5, vcc, v6, v5, vcc
	global_store_dword v[4:5], v1, off
	v_add_u32_e32 v7, 0xb40, v3
	ds_read2_b32 v[0:1], v0 offset0:64 offset1:208
	v_lshlrev_b64 v[4:5], 2, v[7:8]
	v_add_u32_e32 v7, 0xbd0, v3
	v_add_co_u32_e32 v4, vcc, v12, v4
	v_addc_co_u32_e32 v5, vcc, v6, v5, vcc
	s_waitcnt lgkmcnt(0)
	global_store_dword v[4:5], v0, off
	v_lshlrev_b64 v[4:5], 2, v[7:8]
	v_add_u32_e32 v7, 0xc60, v3
	v_add_co_u32_e32 v4, vcc, v12, v4
	v_addc_co_u32_e32 v5, vcc, v6, v5, vcc
	global_store_dword v[4:5], v1, off
	v_add_u32_e32 v0, 0x3000, v11
	v_lshlrev_b64 v[4:5], 2, v[7:8]
	ds_read2_b32 v[0:1], v0 offset0:96 offset1:240
	v_add_u32_e32 v7, 0xcf0, v3
	v_add_co_u32_e32 v4, vcc, v12, v4
	v_lshlrev_b64 v[2:3], 2, v[7:8]
	v_addc_co_u32_e32 v5, vcc, v6, v5, vcc
	v_add_co_u32_e32 v2, vcc, v12, v2
	v_addc_co_u32_e32 v3, vcc, v6, v3, vcc
	s_waitcnt lgkmcnt(0)
	global_store_dword v[4:5], v0, off
	global_store_dword v[2:3], v1, off
.LBB0_21:
	s_endpgm
	.section	.rodata,"a",@progbits
	.p2align	6, 0x0
	.amdhsa_kernel fft_rtc_back_len3456_factors_6_6_6_4_4_wgs_144_tpt_144_halfLds_half_op_CI_CI_unitstride_sbrr_C2R_dirReg
		.amdhsa_group_segment_fixed_size 0
		.amdhsa_private_segment_fixed_size 0
		.amdhsa_kernarg_size 104
		.amdhsa_user_sgpr_count 6
		.amdhsa_user_sgpr_private_segment_buffer 1
		.amdhsa_user_sgpr_dispatch_ptr 0
		.amdhsa_user_sgpr_queue_ptr 0
		.amdhsa_user_sgpr_kernarg_segment_ptr 1
		.amdhsa_user_sgpr_dispatch_id 0
		.amdhsa_user_sgpr_flat_scratch_init 0
		.amdhsa_user_sgpr_private_segment_size 0
		.amdhsa_uses_dynamic_stack 0
		.amdhsa_system_sgpr_private_segment_wavefront_offset 0
		.amdhsa_system_sgpr_workgroup_id_x 1
		.amdhsa_system_sgpr_workgroup_id_y 0
		.amdhsa_system_sgpr_workgroup_id_z 0
		.amdhsa_system_sgpr_workgroup_info 0
		.amdhsa_system_vgpr_workitem_id 0
		.amdhsa_next_free_vgpr 80
		.amdhsa_next_free_sgpr 28
		.amdhsa_reserve_vcc 1
		.amdhsa_reserve_flat_scratch 0
		.amdhsa_float_round_mode_32 0
		.amdhsa_float_round_mode_16_64 0
		.amdhsa_float_denorm_mode_32 3
		.amdhsa_float_denorm_mode_16_64 3
		.amdhsa_dx10_clamp 1
		.amdhsa_ieee_mode 1
		.amdhsa_fp16_overflow 0
		.amdhsa_exception_fp_ieee_invalid_op 0
		.amdhsa_exception_fp_denorm_src 0
		.amdhsa_exception_fp_ieee_div_zero 0
		.amdhsa_exception_fp_ieee_overflow 0
		.amdhsa_exception_fp_ieee_underflow 0
		.amdhsa_exception_fp_ieee_inexact 0
		.amdhsa_exception_int_div_zero 0
	.end_amdhsa_kernel
	.text
.Lfunc_end0:
	.size	fft_rtc_back_len3456_factors_6_6_6_4_4_wgs_144_tpt_144_halfLds_half_op_CI_CI_unitstride_sbrr_C2R_dirReg, .Lfunc_end0-fft_rtc_back_len3456_factors_6_6_6_4_4_wgs_144_tpt_144_halfLds_half_op_CI_CI_unitstride_sbrr_C2R_dirReg
                                        ; -- End function
	.section	.AMDGPU.csdata,"",@progbits
; Kernel info:
; codeLenInByte = 15496
; NumSgprs: 32
; NumVgprs: 80
; ScratchSize: 0
; MemoryBound: 0
; FloatMode: 240
; IeeeMode: 1
; LDSByteSize: 0 bytes/workgroup (compile time only)
; SGPRBlocks: 3
; VGPRBlocks: 19
; NumSGPRsForWavesPerEU: 32
; NumVGPRsForWavesPerEU: 80
; Occupancy: 3
; WaveLimiterHint : 1
; COMPUTE_PGM_RSRC2:SCRATCH_EN: 0
; COMPUTE_PGM_RSRC2:USER_SGPR: 6
; COMPUTE_PGM_RSRC2:TRAP_HANDLER: 0
; COMPUTE_PGM_RSRC2:TGID_X_EN: 1
; COMPUTE_PGM_RSRC2:TGID_Y_EN: 0
; COMPUTE_PGM_RSRC2:TGID_Z_EN: 0
; COMPUTE_PGM_RSRC2:TIDIG_COMP_CNT: 0
	.type	__hip_cuid_d3304ad20415c82,@object ; @__hip_cuid_d3304ad20415c82
	.section	.bss,"aw",@nobits
	.globl	__hip_cuid_d3304ad20415c82
__hip_cuid_d3304ad20415c82:
	.byte	0                               ; 0x0
	.size	__hip_cuid_d3304ad20415c82, 1

	.ident	"AMD clang version 19.0.0git (https://github.com/RadeonOpenCompute/llvm-project roc-6.4.0 25133 c7fe45cf4b819c5991fe208aaa96edf142730f1d)"
	.section	".note.GNU-stack","",@progbits
	.addrsig
	.addrsig_sym __hip_cuid_d3304ad20415c82
	.amdgpu_metadata
---
amdhsa.kernels:
  - .args:
      - .actual_access:  read_only
        .address_space:  global
        .offset:         0
        .size:           8
        .value_kind:     global_buffer
      - .offset:         8
        .size:           8
        .value_kind:     by_value
      - .actual_access:  read_only
        .address_space:  global
        .offset:         16
        .size:           8
        .value_kind:     global_buffer
      - .actual_access:  read_only
        .address_space:  global
        .offset:         24
        .size:           8
        .value_kind:     global_buffer
      - .actual_access:  read_only
        .address_space:  global
        .offset:         32
        .size:           8
        .value_kind:     global_buffer
      - .offset:         40
        .size:           8
        .value_kind:     by_value
      - .actual_access:  read_only
        .address_space:  global
        .offset:         48
        .size:           8
        .value_kind:     global_buffer
      - .actual_access:  read_only
        .address_space:  global
        .offset:         56
        .size:           8
        .value_kind:     global_buffer
      - .offset:         64
        .size:           4
        .value_kind:     by_value
      - .actual_access:  read_only
        .address_space:  global
        .offset:         72
        .size:           8
        .value_kind:     global_buffer
      - .actual_access:  read_only
        .address_space:  global
        .offset:         80
        .size:           8
        .value_kind:     global_buffer
      - .actual_access:  read_only
        .address_space:  global
        .offset:         88
        .size:           8
        .value_kind:     global_buffer
      - .actual_access:  write_only
        .address_space:  global
        .offset:         96
        .size:           8
        .value_kind:     global_buffer
    .group_segment_fixed_size: 0
    .kernarg_segment_align: 8
    .kernarg_segment_size: 104
    .language:       OpenCL C
    .language_version:
      - 2
      - 0
    .max_flat_workgroup_size: 144
    .name:           fft_rtc_back_len3456_factors_6_6_6_4_4_wgs_144_tpt_144_halfLds_half_op_CI_CI_unitstride_sbrr_C2R_dirReg
    .private_segment_fixed_size: 0
    .sgpr_count:     32
    .sgpr_spill_count: 0
    .symbol:         fft_rtc_back_len3456_factors_6_6_6_4_4_wgs_144_tpt_144_halfLds_half_op_CI_CI_unitstride_sbrr_C2R_dirReg.kd
    .uniform_work_group_size: 1
    .uses_dynamic_stack: false
    .vgpr_count:     80
    .vgpr_spill_count: 0
    .wavefront_size: 64
amdhsa.target:   amdgcn-amd-amdhsa--gfx906
amdhsa.version:
  - 1
  - 2
...

	.end_amdgpu_metadata
